;; amdgpu-corpus repo=ROCm/rocFFT kind=compiled arch=gfx1201 opt=O3
	.text
	.amdgcn_target "amdgcn-amd-amdhsa--gfx1201"
	.amdhsa_code_object_version 6
	.protected	fft_rtc_fwd_len3840_factors_10_6_2_2_2_2_2_2_wgs_128_tpt_128_halfLds_sp_op_CI_CI_unitstride_sbrr_dirReg ; -- Begin function fft_rtc_fwd_len3840_factors_10_6_2_2_2_2_2_2_wgs_128_tpt_128_halfLds_sp_op_CI_CI_unitstride_sbrr_dirReg
	.globl	fft_rtc_fwd_len3840_factors_10_6_2_2_2_2_2_2_wgs_128_tpt_128_halfLds_sp_op_CI_CI_unitstride_sbrr_dirReg
	.p2align	8
	.type	fft_rtc_fwd_len3840_factors_10_6_2_2_2_2_2_2_wgs_128_tpt_128_halfLds_sp_op_CI_CI_unitstride_sbrr_dirReg,@function
fft_rtc_fwd_len3840_factors_10_6_2_2_2_2_2_2_wgs_128_tpt_128_halfLds_sp_op_CI_CI_unitstride_sbrr_dirReg: ; @fft_rtc_fwd_len3840_factors_10_6_2_2_2_2_2_2_wgs_128_tpt_128_halfLds_sp_op_CI_CI_unitstride_sbrr_dirReg
; %bb.0:
	s_clause 0x2
	s_load_b128 s[8:11], s[0:1], 0x0
	s_load_b128 s[4:7], s[0:1], 0x58
	;; [unrolled: 1-line block ×3, first 2 shown]
	v_dual_mov_b32 v1, 0 :: v_dual_mov_b32 v88, 0
	v_mov_b32_e32 v3, ttmp9
	v_mov_b32_e32 v89, 0
	s_mov_b32 s3, 0
	s_delay_alu instid0(VALU_DEP_3) | instskip(SKIP_2) | instid1(VALU_DEP_1)
	v_mov_b32_e32 v4, v1
	s_wait_kmcnt 0x0
	v_cmp_lt_u64_e64 s2, s[10:11], 2
	s_and_b32 vcc_lo, exec_lo, s2
	s_cbranch_vccnz .LBB0_8
; %bb.1:
	s_load_b64 s[20:21], s[0:1], 0x10
	v_mov_b32_e32 v88, 0
	v_mov_b32_e32 v89, 0
	s_delay_alu instid0(VALU_DEP_2)
	v_mov_b32_e32 v38, v88
	s_add_nc_u64 s[16:17], s[14:15], 8
	s_add_nc_u64 s[18:19], s[12:13], 8
	s_mov_b64 s[22:23], 1
	v_mov_b32_e32 v39, v89
	s_wait_kmcnt 0x0
	s_add_nc_u64 s[20:21], s[20:21], 8
.LBB0_2:                                ; =>This Inner Loop Header: Depth=1
	s_load_b64 s[24:25], s[20:21], 0x0
                                        ; implicit-def: $vgpr40_vgpr41
	s_mov_b32 s2, exec_lo
	s_wait_kmcnt 0x0
	v_or_b32_e32 v2, s25, v4
	s_delay_alu instid0(VALU_DEP_1)
	v_cmpx_ne_u64_e32 0, v[1:2]
	s_wait_alu 0xfffe
	s_xor_b32 s26, exec_lo, s2
	s_cbranch_execz .LBB0_4
; %bb.3:                                ;   in Loop: Header=BB0_2 Depth=1
	s_cvt_f32_u32 s2, s24
	s_cvt_f32_u32 s27, s25
	s_sub_nc_u64 s[30:31], 0, s[24:25]
	s_wait_alu 0xfffe
	s_delay_alu instid0(SALU_CYCLE_1) | instskip(SKIP_1) | instid1(SALU_CYCLE_2)
	s_fmamk_f32 s2, s27, 0x4f800000, s2
	s_wait_alu 0xfffe
	v_s_rcp_f32 s2, s2
	s_delay_alu instid0(TRANS32_DEP_1) | instskip(SKIP_1) | instid1(SALU_CYCLE_2)
	s_mul_f32 s2, s2, 0x5f7ffffc
	s_wait_alu 0xfffe
	s_mul_f32 s27, s2, 0x2f800000
	s_wait_alu 0xfffe
	s_delay_alu instid0(SALU_CYCLE_2) | instskip(SKIP_1) | instid1(SALU_CYCLE_2)
	s_trunc_f32 s27, s27
	s_wait_alu 0xfffe
	s_fmamk_f32 s2, s27, 0xcf800000, s2
	s_cvt_u32_f32 s29, s27
	s_wait_alu 0xfffe
	s_delay_alu instid0(SALU_CYCLE_1) | instskip(SKIP_1) | instid1(SALU_CYCLE_2)
	s_cvt_u32_f32 s28, s2
	s_wait_alu 0xfffe
	s_mul_u64 s[34:35], s[30:31], s[28:29]
	s_wait_alu 0xfffe
	s_mul_hi_u32 s37, s28, s35
	s_mul_i32 s36, s28, s35
	s_mul_hi_u32 s2, s28, s34
	s_mul_i32 s33, s29, s34
	s_wait_alu 0xfffe
	s_add_nc_u64 s[36:37], s[2:3], s[36:37]
	s_mul_hi_u32 s27, s29, s34
	s_mul_hi_u32 s38, s29, s35
	s_add_co_u32 s2, s36, s33
	s_wait_alu 0xfffe
	s_add_co_ci_u32 s2, s37, s27
	s_mul_i32 s34, s29, s35
	s_add_co_ci_u32 s35, s38, 0
	s_wait_alu 0xfffe
	s_add_nc_u64 s[34:35], s[2:3], s[34:35]
	s_wait_alu 0xfffe
	v_add_co_u32 v2, s2, s28, s34
	s_delay_alu instid0(VALU_DEP_1) | instskip(SKIP_1) | instid1(VALU_DEP_1)
	s_cmp_lg_u32 s2, 0
	s_add_co_ci_u32 s29, s29, s35
	v_readfirstlane_b32 s28, v2
	s_wait_alu 0xfffe
	s_delay_alu instid0(VALU_DEP_1)
	s_mul_u64 s[30:31], s[30:31], s[28:29]
	s_wait_alu 0xfffe
	s_mul_hi_u32 s35, s28, s31
	s_mul_i32 s34, s28, s31
	s_mul_hi_u32 s2, s28, s30
	s_mul_i32 s33, s29, s30
	s_wait_alu 0xfffe
	s_add_nc_u64 s[34:35], s[2:3], s[34:35]
	s_mul_hi_u32 s27, s29, s30
	s_mul_hi_u32 s28, s29, s31
	s_wait_alu 0xfffe
	s_add_co_u32 s2, s34, s33
	s_add_co_ci_u32 s2, s35, s27
	s_mul_i32 s30, s29, s31
	s_add_co_ci_u32 s31, s28, 0
	s_wait_alu 0xfffe
	s_add_nc_u64 s[30:31], s[2:3], s[30:31]
	s_wait_alu 0xfffe
	v_add_co_u32 v2, s2, v2, s30
	s_delay_alu instid0(VALU_DEP_1) | instskip(SKIP_1) | instid1(VALU_DEP_1)
	s_cmp_lg_u32 s2, 0
	s_add_co_ci_u32 s2, s29, s31
	v_mul_hi_u32 v11, v3, v2
	s_wait_alu 0xfffe
	v_mad_co_u64_u32 v[5:6], null, v3, s2, 0
	v_mad_co_u64_u32 v[7:8], null, v4, v2, 0
	;; [unrolled: 1-line block ×3, first 2 shown]
	s_delay_alu instid0(VALU_DEP_3) | instskip(SKIP_1) | instid1(VALU_DEP_4)
	v_add_co_u32 v2, vcc_lo, v11, v5
	s_wait_alu 0xfffd
	v_add_co_ci_u32_e32 v5, vcc_lo, 0, v6, vcc_lo
	s_delay_alu instid0(VALU_DEP_2) | instskip(SKIP_1) | instid1(VALU_DEP_2)
	v_add_co_u32 v2, vcc_lo, v2, v7
	s_wait_alu 0xfffd
	v_add_co_ci_u32_e32 v2, vcc_lo, v5, v8, vcc_lo
	s_wait_alu 0xfffd
	v_add_co_ci_u32_e32 v5, vcc_lo, 0, v10, vcc_lo
	s_delay_alu instid0(VALU_DEP_2) | instskip(SKIP_1) | instid1(VALU_DEP_2)
	v_add_co_u32 v2, vcc_lo, v2, v9
	s_wait_alu 0xfffd
	v_add_co_ci_u32_e32 v7, vcc_lo, 0, v5, vcc_lo
	s_delay_alu instid0(VALU_DEP_2) | instskip(SKIP_1) | instid1(VALU_DEP_3)
	v_mul_lo_u32 v8, s25, v2
	v_mad_co_u64_u32 v[5:6], null, s24, v2, 0
	v_mul_lo_u32 v9, s24, v7
	s_delay_alu instid0(VALU_DEP_2) | instskip(NEXT) | instid1(VALU_DEP_2)
	v_sub_co_u32 v5, vcc_lo, v3, v5
	v_add3_u32 v6, v6, v9, v8
	s_delay_alu instid0(VALU_DEP_1) | instskip(SKIP_1) | instid1(VALU_DEP_1)
	v_sub_nc_u32_e32 v8, v4, v6
	s_wait_alu 0xfffd
	v_subrev_co_ci_u32_e64 v8, s2, s25, v8, vcc_lo
	v_add_co_u32 v9, s2, v2, 2
	s_wait_alu 0xf1ff
	v_add_co_ci_u32_e64 v10, s2, 0, v7, s2
	v_sub_co_u32 v11, s2, v5, s24
	v_sub_co_ci_u32_e32 v6, vcc_lo, v4, v6, vcc_lo
	s_wait_alu 0xf1ff
	v_subrev_co_ci_u32_e64 v8, s2, 0, v8, s2
	s_delay_alu instid0(VALU_DEP_3) | instskip(NEXT) | instid1(VALU_DEP_3)
	v_cmp_le_u32_e32 vcc_lo, s24, v11
	v_cmp_eq_u32_e64 s2, s25, v6
	s_wait_alu 0xfffd
	v_cndmask_b32_e64 v11, 0, -1, vcc_lo
	v_cmp_le_u32_e32 vcc_lo, s25, v8
	s_wait_alu 0xfffd
	v_cndmask_b32_e64 v12, 0, -1, vcc_lo
	v_cmp_le_u32_e32 vcc_lo, s24, v5
	;; [unrolled: 3-line block ×3, first 2 shown]
	s_wait_alu 0xfffd
	v_cndmask_b32_e64 v13, 0, -1, vcc_lo
	v_cmp_eq_u32_e32 vcc_lo, s25, v8
	s_wait_alu 0xf1ff
	s_delay_alu instid0(VALU_DEP_2)
	v_cndmask_b32_e64 v5, v13, v5, s2
	s_wait_alu 0xfffd
	v_cndmask_b32_e32 v8, v12, v11, vcc_lo
	v_add_co_u32 v11, vcc_lo, v2, 1
	s_wait_alu 0xfffd
	v_add_co_ci_u32_e32 v12, vcc_lo, 0, v7, vcc_lo
	s_delay_alu instid0(VALU_DEP_3) | instskip(SKIP_1) | instid1(VALU_DEP_2)
	v_cmp_ne_u32_e32 vcc_lo, 0, v8
	s_wait_alu 0xfffd
	v_cndmask_b32_e32 v6, v12, v10, vcc_lo
	v_cndmask_b32_e32 v8, v11, v9, vcc_lo
	v_cmp_ne_u32_e32 vcc_lo, 0, v5
	s_wait_alu 0xfffd
	s_delay_alu instid0(VALU_DEP_2)
	v_dual_cndmask_b32 v41, v7, v6 :: v_dual_cndmask_b32 v40, v2, v8
.LBB0_4:                                ;   in Loop: Header=BB0_2 Depth=1
	s_wait_alu 0xfffe
	s_and_not1_saveexec_b32 s2, s26
	s_cbranch_execz .LBB0_6
; %bb.5:                                ;   in Loop: Header=BB0_2 Depth=1
	v_cvt_f32_u32_e32 v2, s24
	s_sub_co_i32 s26, 0, s24
	v_mov_b32_e32 v41, v1
	s_delay_alu instid0(VALU_DEP_2) | instskip(NEXT) | instid1(TRANS32_DEP_1)
	v_rcp_iflag_f32_e32 v2, v2
	v_mul_f32_e32 v2, 0x4f7ffffe, v2
	s_delay_alu instid0(VALU_DEP_1) | instskip(SKIP_1) | instid1(VALU_DEP_1)
	v_cvt_u32_f32_e32 v2, v2
	s_wait_alu 0xfffe
	v_mul_lo_u32 v5, s26, v2
	s_delay_alu instid0(VALU_DEP_1) | instskip(NEXT) | instid1(VALU_DEP_1)
	v_mul_hi_u32 v5, v2, v5
	v_add_nc_u32_e32 v2, v2, v5
	s_delay_alu instid0(VALU_DEP_1) | instskip(NEXT) | instid1(VALU_DEP_1)
	v_mul_hi_u32 v2, v3, v2
	v_mul_lo_u32 v5, v2, s24
	v_add_nc_u32_e32 v6, 1, v2
	s_delay_alu instid0(VALU_DEP_2) | instskip(NEXT) | instid1(VALU_DEP_1)
	v_sub_nc_u32_e32 v5, v3, v5
	v_subrev_nc_u32_e32 v7, s24, v5
	v_cmp_le_u32_e32 vcc_lo, s24, v5
	s_wait_alu 0xfffd
	s_delay_alu instid0(VALU_DEP_2) | instskip(NEXT) | instid1(VALU_DEP_1)
	v_dual_cndmask_b32 v5, v5, v7 :: v_dual_cndmask_b32 v2, v2, v6
	v_cmp_le_u32_e32 vcc_lo, s24, v5
	s_delay_alu instid0(VALU_DEP_2) | instskip(SKIP_1) | instid1(VALU_DEP_1)
	v_add_nc_u32_e32 v6, 1, v2
	s_wait_alu 0xfffd
	v_cndmask_b32_e32 v40, v2, v6, vcc_lo
.LBB0_6:                                ;   in Loop: Header=BB0_2 Depth=1
	s_wait_alu 0xfffe
	s_or_b32 exec_lo, exec_lo, s2
	v_mul_lo_u32 v2, v41, s24
	s_delay_alu instid0(VALU_DEP_2)
	v_mul_lo_u32 v7, v40, s25
	s_load_b64 s[26:27], s[18:19], 0x0
	v_mad_co_u64_u32 v[5:6], null, v40, s24, 0
	s_load_b64 s[24:25], s[16:17], 0x0
	s_add_nc_u64 s[22:23], s[22:23], 1
	s_add_nc_u64 s[16:17], s[16:17], 8
	s_wait_alu 0xfffe
	v_cmp_ge_u64_e64 s2, s[22:23], s[10:11]
	s_add_nc_u64 s[18:19], s[18:19], 8
	s_add_nc_u64 s[20:21], s[20:21], 8
	v_add3_u32 v2, v6, v7, v2
	v_sub_co_u32 v3, vcc_lo, v3, v5
	s_wait_alu 0xfffd
	s_delay_alu instid0(VALU_DEP_2) | instskip(SKIP_2) | instid1(VALU_DEP_1)
	v_sub_co_ci_u32_e32 v2, vcc_lo, v4, v2, vcc_lo
	s_and_b32 vcc_lo, exec_lo, s2
	s_wait_kmcnt 0x0
	v_mul_lo_u32 v4, s26, v2
	v_mul_lo_u32 v5, s27, v3
	v_mad_co_u64_u32 v[88:89], null, s26, v3, v[88:89]
	v_mul_lo_u32 v2, s24, v2
	v_mul_lo_u32 v6, s25, v3
	v_mad_co_u64_u32 v[38:39], null, s24, v3, v[38:39]
	s_delay_alu instid0(VALU_DEP_4) | instskip(NEXT) | instid1(VALU_DEP_2)
	v_add3_u32 v89, v5, v89, v4
	v_add3_u32 v39, v6, v39, v2
	s_wait_alu 0xfffe
	s_cbranch_vccnz .LBB0_9
; %bb.7:                                ;   in Loop: Header=BB0_2 Depth=1
	v_dual_mov_b32 v3, v40 :: v_dual_mov_b32 v4, v41
	s_branch .LBB0_2
.LBB0_8:
	v_dual_mov_b32 v38, v88 :: v_dual_mov_b32 v39, v89
	v_dual_mov_b32 v41, v4 :: v_dual_mov_b32 v40, v3
.LBB0_9:
	s_load_b64 s[0:1], s[0:1], 0x28
	v_or_b32_e32 v42, 0x80, v0
	v_or_b32_e32 v44, 0x100, v0
	;; [unrolled: 1-line block ×14, first 2 shown]
	s_lshl_b64 s[10:11], s[10:11], 3
	s_wait_kmcnt 0x0
	v_cmp_gt_u64_e32 vcc_lo, s[0:1], v[40:41]
	v_cmp_le_u64_e64 s0, s[0:1], v[40:41]
	s_delay_alu instid0(VALU_DEP_1)
	s_and_saveexec_b32 s1, s0
	s_wait_alu 0xfffe
	s_xor_b32 s0, exec_lo, s1
	s_cbranch_execz .LBB0_11
; %bb.10:
	v_mov_b32_e32 v1, 0
	v_or_b32_e32 v42, 0x80, v0
	v_or_b32_e32 v44, 0x100, v0
	;; [unrolled: 1-line block ×14, first 2 shown]
	v_mov_b32_e32 v43, v1
	v_mov_b32_e32 v45, v1
	;; [unrolled: 1-line block ×6, first 2 shown]
                                        ; implicit-def: $vgpr88_vgpr89
.LBB0_11:
	s_wait_alu 0xfffe
	s_or_saveexec_b32 s1, s0
	s_add_nc_u64 s[2:3], s[14:15], s[10:11]
                                        ; implicit-def: $vgpr29
                                        ; implicit-def: $vgpr73
                                        ; implicit-def: $vgpr77
                                        ; implicit-def: $vgpr69
                                        ; implicit-def: $vgpr71
                                        ; implicit-def: $vgpr9
                                        ; implicit-def: $vgpr35
                                        ; implicit-def: $vgpr27
                                        ; implicit-def: $vgpr21
                                        ; implicit-def: $vgpr23
                                        ; implicit-def: $vgpr3
                                        ; implicit-def: $vgpr11
                                        ; implicit-def: $vgpr17
                                        ; implicit-def: $vgpr13
                                        ; implicit-def: $vgpr5
                                        ; implicit-def: $vgpr15
                                        ; implicit-def: $vgpr19
                                        ; implicit-def: $vgpr33
                                        ; implicit-def: $vgpr85
                                        ; implicit-def: $vgpr7
                                        ; implicit-def: $vgpr31
                                        ; implicit-def: $vgpr37
                                        ; implicit-def: $vgpr67
                                        ; implicit-def: $vgpr87
                                        ; implicit-def: $vgpr25
                                        ; implicit-def: $vgpr75
                                        ; implicit-def: $vgpr81
                                        ; implicit-def: $vgpr83
                                        ; implicit-def: $vgpr90
                                        ; implicit-def: $vgpr79
	s_wait_alu 0xfffe
	s_xor_b32 exec_lo, exec_lo, s1
	s_cbranch_execz .LBB0_13
; %bb.12:
	s_add_nc_u64 s[10:11], s[12:13], s[10:11]
	v_lshlrev_b32_e32 v5, 3, v0
	s_load_b64 s[10:11], s[10:11], 0x0
	v_lshlrev_b32_e32 v6, 3, v46
	s_delay_alu instid0(VALU_DEP_2)
	v_or_b32_e32 v7, 0x3c00, v5
	v_or_b32_e32 v13, 0x5c00, v5
	s_wait_kmcnt 0x0
	v_mul_lo_u32 v3, s11, v40
	v_mul_lo_u32 v4, s10, v41
	v_mad_co_u64_u32 v[1:2], null, s10, v40, 0
	s_delay_alu instid0(VALU_DEP_1) | instskip(SKIP_1) | instid1(VALU_DEP_2)
	v_add3_u32 v2, v2, v4, v3
	v_lshlrev_b64_e32 v[3:4], 3, v[88:89]
	v_lshlrev_b64_e32 v[1:2], 3, v[1:2]
	s_delay_alu instid0(VALU_DEP_1) | instskip(SKIP_1) | instid1(VALU_DEP_2)
	v_add_co_u32 v1, s0, s4, v1
	s_wait_alu 0xf1ff
	v_add_co_ci_u32_e64 v2, s0, s5, v2, s0
	s_delay_alu instid0(VALU_DEP_2) | instskip(SKIP_1) | instid1(VALU_DEP_2)
	v_add_co_u32 v1, s0, v1, v3
	s_wait_alu 0xf1ff
	v_add_co_ci_u32_e64 v12, s0, v2, v4, s0
	s_delay_alu instid0(VALU_DEP_2) | instskip(SKIP_1) | instid1(VALU_DEP_2)
	v_add_co_u32 v14, s0, v1, v5
	s_wait_alu 0xf1ff
	v_add_co_ci_u32_e64 v15, s0, 0, v12, s0
	v_add_co_u32 v82, s0, v1, v7
	s_wait_alu 0xf1ff
	v_add_co_ci_u32_e64 v83, s0, 0, v12, s0
	v_add_co_u32 v18, s0, v1, v6
	s_clause 0x15
	global_load_b64 v[28:29], v[14:15], off
	global_load_b64 v[8:9], v[14:15], off offset:1024
	global_load_b64 v[24:25], v[14:15], off offset:4096
	;; [unrolled: 1-line block ×21, first 2 shown]
	s_wait_alu 0xf1ff
	v_add_co_ci_u32_e64 v19, s0, 0, v12, s0
	v_add_co_u32 v91, s0, v1, v13
	v_mov_b32_e32 v1, 0
	s_wait_alu 0xf1ff
	v_add_co_ci_u32_e64 v92, s0, 0, v12, s0
	s_clause 0x7
	global_load_b64 v[66:67], v[14:15], off offset:16384
	global_load_b64 v[16:17], v[14:15], off offset:14336
	;; [unrolled: 1-line block ×4, first 2 shown]
	global_load_b64 v[34:35], v[18:19], off
	global_load_b64 v[18:19], v[91:92], off
	;; [unrolled: 1-line block ×3, first 2 shown]
	global_load_b64 v[14:15], v[14:15], off offset:29696
	v_mov_b32_e32 v65, v1
	v_mov_b32_e32 v59, v1
	;; [unrolled: 1-line block ×6, first 2 shown]
.LBB0_13:
	s_or_b32 exec_lo, exec_lo, s1
	s_wait_loadcnt 0xa
	v_dual_add_f32 v49, v76, v68 :: v_dual_sub_f32 v88, v73, v71
	v_sub_f32_e32 v52, v72, v76
	v_add_f32_e32 v98, v89, v78
	v_sub_f32_e32 v104, v20, v22
	s_delay_alu instid0(VALU_DEP_4) | instskip(SKIP_3) | instid1(VALU_DEP_4)
	v_fma_f32 v95, -0.5, v49, v28
	v_add_f32_e32 v56, v72, v70
	v_dual_sub_f32 v54, v70, v68 :: v_dual_sub_f32 v49, v77, v69
	v_add_f32_e32 v91, v28, v72
	v_fmamk_f32 v97, v88, 0x3f737871, v95
	v_fmac_f32_e32 v95, 0xbf737871, v88
	v_fmac_f32_e32 v28, -0.5, v56
	v_add_f32_e32 v52, v52, v54
	s_wait_loadcnt 0x1
	v_dual_sub_f32 v54, v76, v72 :: v_dual_sub_f32 v93, v83, v81
	v_dual_fmac_f32 v97, 0x3f167918, v49 :: v_dual_sub_f32 v56, v68, v70
	v_fmac_f32_e32 v95, 0xbf167918, v49
	v_fmamk_f32 v96, v49, 0xbf737871, v28
	v_dual_fmac_f32 v28, 0x3f737871, v49 :: v_dual_add_f32 v49, v80, v82
	s_delay_alu instid0(VALU_DEP_4)
	v_fmac_f32_e32 v97, 0x3e9e377a, v52
	v_add_f32_e32 v54, v54, v56
	v_sub_f32_e32 v56, v90, v75
	v_fmac_f32_e32 v96, 0x3f167918, v88
	v_fma_f32 v49, -0.5, v49, v78
	v_dual_fmac_f32 v28, 0xbf167918, v88 :: v_dual_add_f32 v99, v75, v90
	v_dual_fmac_f32 v95, 0x3e9e377a, v52 :: v_dual_add_f32 v92, v74, v89
	s_delay_alu instid0(VALU_DEP_3) | instskip(SKIP_2) | instid1(VALU_DEP_4)
	v_dual_fmamk_f32 v52, v56, 0x3f737871, v49 :: v_dual_sub_f32 v101, v81, v75
	v_fmac_f32_e32 v49, 0xbf737871, v56
	v_sub_f32_e32 v88, v74, v80
	v_fmac_f32_e32 v78, -0.5, v92
	s_delay_alu instid0(VALU_DEP_4) | instskip(NEXT) | instid1(VALU_DEP_4)
	v_dual_fmac_f32 v52, 0x3f167918, v93 :: v_dual_add_f32 v91, v91, v76
	v_fmac_f32_e32 v49, 0xbf167918, v93
	v_fmac_f32_e32 v96, 0x3e9e377a, v54
	v_fmac_f32_e32 v28, 0x3e9e377a, v54
	v_sub_f32_e32 v54, v89, v82
	v_dual_sub_f32 v92, v82, v89 :: v_dual_sub_f32 v89, v89, v74
	v_sub_f32_e32 v94, v80, v74
	v_cmp_gt_u32_e64 s0, 0x78, v0
	s_delay_alu instid0(VALU_DEP_4) | instskip(SKIP_2) | instid1(VALU_DEP_3)
	v_add_f32_e32 v88, v88, v54
	v_fmamk_f32 v54, v93, 0xbf737871, v78
	v_dual_fmac_f32 v78, 0x3f737871, v93 :: v_dual_sub_f32 v93, v90, v83
	v_dual_sub_f32 v103, v26, v34 :: v_dual_fmac_f32 v52, 0x3e9e377a, v88
	v_fmac_f32_e32 v49, 0x3e9e377a, v88
	v_add_f32_e32 v88, v94, v92
	v_add_f32_e32 v92, v81, v83
	v_sub_f32_e32 v94, v75, v81
	v_fmac_f32_e32 v54, 0x3f167918, v56
	v_dual_fmac_f32 v78, 0xbf167918, v56 :: v_dual_add_f32 v119, v87, v25
	s_delay_alu instid0(VALU_DEP_4) | instskip(NEXT) | instid1(VALU_DEP_4)
	v_fma_f32 v56, -0.5, v92, v79
	v_add_f32_e32 v100, v94, v93
	v_add_f32_e32 v94, v90, v79
	v_fmac_f32_e32 v79, -0.5, v99
	s_delay_alu instid0(VALU_DEP_4) | instskip(SKIP_2) | instid1(VALU_DEP_3)
	v_dual_sub_f32 v99, v82, v80 :: v_dual_fmamk_f32 v92, v89, 0xbf737871, v56
	v_sub_f32_e32 v90, v83, v90
	v_dual_fmac_f32 v56, 0x3f737871, v89 :: v_dual_add_f32 v123, v85, v7
	v_fmamk_f32 v93, v99, 0x3f737871, v79
	s_delay_alu instid0(VALU_DEP_4) | instskip(SKIP_1) | instid1(VALU_DEP_4)
	v_fmac_f32_e32 v92, 0xbf167918, v99
	v_fmac_f32_e32 v79, 0xbf737871, v99
	;; [unrolled: 1-line block ×3, first 2 shown]
	s_delay_alu instid0(VALU_DEP_4)
	v_dual_add_f32 v90, v101, v90 :: v_dual_fmac_f32 v93, 0xbf167918, v89
	v_dual_add_f32 v82, v82, v98 :: v_dual_mul_f32 v99, 0x3f4f1bbd, v49
	v_fmac_f32_e32 v54, 0x3e9e377a, v88
	v_fmac_f32_e32 v79, 0x3f167918, v89
	;; [unrolled: 1-line block ×3, first 2 shown]
	v_dual_add_f32 v88, v91, v68 :: v_dual_fmac_f32 v93, 0x3e9e377a, v90
	v_add_f32_e32 v80, v80, v82
	v_mul_f32_e32 v98, 0x3e9e377a, v54
	v_dual_fmac_f32 v56, 0x3e9e377a, v100 :: v_dual_fmac_f32 v79, 0x3e9e377a, v90
	s_delay_alu instid0(VALU_DEP_4)
	v_add_f32_e32 v82, v88, v70
	v_mul_f32_e32 v88, 0x3e9e377a, v78
	v_add_f32_e32 v74, v74, v80
	v_fmac_f32_e32 v98, 0x3f737871, v93
	v_fma_f32 v101, 0x3f167918, v56, -v99
	v_sub_f32_e32 v70, v72, v70
	v_fma_f32 v80, 0x3f737871, v79, -v88
	v_add_f32_e32 v88, v82, v74
	v_sub_f32_e32 v91, v96, v98
	v_add_f32_e32 v96, v96, v98
	v_dual_sub_f32 v99, v82, v74 :: v_dual_add_f32 v98, v95, v101
	v_sub_f32_e32 v102, v95, v101
	v_sub_f32_e32 v82, v34, v26
	;; [unrolled: 1-line block ×4, first 2 shown]
	v_fmac_f32_e32 v92, 0x3e9e377a, v100
	v_add_f32_e32 v74, v26, v20
	v_mul_u32_u24_e32 v100, 10, v0
	v_dual_add_f32 v82, v82, v95 :: v_dual_add_f32 v95, v8, v34
	v_mul_f32_e32 v90, 0x3f4f1bbd, v52
	s_delay_alu instid0(VALU_DEP_4) | instskip(NEXT) | instid1(VALU_DEP_4)
	v_fma_f32 v74, -0.5, v74, v8
	v_lshl_add_u32 v112, v100, 2, 0
	v_add_f32_e32 v72, v73, v71
	v_sub_f32_e32 v106, v36, v30
	v_fmac_f32_e32 v90, 0x3f167918, v92
	s_delay_alu instid0(VALU_DEP_1) | instskip(SKIP_3) | instid1(VALU_DEP_2)
	v_add_f32_e32 v89, v97, v90
	v_dual_sub_f32 v90, v97, v90 :: v_dual_add_f32 v97, v28, v80
	v_add_f32_e32 v28, v34, v22
	v_sub_f32_e32 v80, v35, v23
	v_fmac_f32_e32 v8, -0.5, v28
	v_sub_f32_e32 v28, v27, v21
	s_delay_alu instid0(VALU_DEP_3) | instskip(SKIP_1) | instid1(VALU_DEP_3)
	v_fmamk_f32 v100, v80, 0x3f737871, v74
	v_fmac_f32_e32 v74, 0xbf737871, v80
	v_fmamk_f32 v105, v28, 0xbf737871, v8
	s_delay_alu instid0(VALU_DEP_3) | instskip(SKIP_1) | instid1(VALU_DEP_4)
	v_fmac_f32_e32 v100, 0x3f167918, v28
	v_fmac_f32_e32 v8, 0x3f737871, v28
	v_fmac_f32_e32 v74, 0xbf167918, v28
	v_dual_add_f32 v28, v103, v104 :: v_dual_add_f32 v103, v36, v66
	v_fmac_f32_e32 v105, 0x3f167918, v80
	s_delay_alu instid0(VALU_DEP_4)
	v_fmac_f32_e32 v8, 0xbf167918, v80
	v_sub_f32_e32 v80, v87, v31
	v_fmac_f32_e32 v100, 0x3e9e377a, v82
	v_fma_f32 v113, -0.5, v103, v24
	v_dual_fmac_f32 v74, 0x3e9e377a, v82 :: v_dual_fmac_f32 v105, 0x3e9e377a, v28
	v_fmac_f32_e32 v8, 0x3e9e377a, v28
	v_sub_f32_e32 v28, v86, v66
	v_sub_f32_e32 v82, v30, v36
	v_dual_add_f32 v103, v30, v86 :: v_dual_fmamk_f32 v116, v80, 0x3f737871, v113
	v_dual_sub_f32 v104, v67, v37 :: v_dual_fmac_f32 v113, 0xbf737871, v80
	s_delay_alu instid0(VALU_DEP_3) | instskip(SKIP_1) | instid1(VALU_DEP_4)
	v_add_f32_e32 v28, v82, v28
	v_add_f32_e32 v82, v86, v24
	v_fmac_f32_e32 v24, -0.5, v103
	s_delay_alu instid0(VALU_DEP_4) | instskip(SKIP_2) | instid1(VALU_DEP_4)
	v_fmac_f32_e32 v116, 0x3f167918, v104
	v_fmac_f32_e32 v113, 0xbf167918, v104
	v_sub_f32_e32 v103, v66, v86
	v_dual_sub_f32 v86, v86, v30 :: v_dual_fmamk_f32 v117, v104, 0xbf737871, v24
	s_delay_alu instid0(VALU_DEP_4) | instskip(NEXT) | instid1(VALU_DEP_4)
	v_fmac_f32_e32 v116, 0x3e9e377a, v28
	v_fmac_f32_e32 v113, 0x3e9e377a, v28
	;; [unrolled: 1-line block ×3, first 2 shown]
	v_add_f32_e32 v28, v106, v103
	v_add_f32_e32 v103, v37, v67
	v_dual_fmac_f32 v117, 0x3f167918, v80 :: v_dual_sub_f32 v104, v87, v67
	v_sub_f32_e32 v106, v31, v37
	v_fmac_f32_e32 v24, 0xbf167918, v80
	v_add_f32_e32 v80, v31, v87
	v_fma_f32 v118, -0.5, v103, v25
	v_sub_f32_e32 v87, v67, v87
	v_dual_add_f32 v103, v106, v104 :: v_dual_sub_f32 v104, v37, v31
	s_delay_alu instid0(VALU_DEP_4)
	v_fmac_f32_e32 v25, -0.5, v80
	v_sub_f32_e32 v80, v66, v36
	v_fmamk_f32 v120, v86, 0xbf737871, v118
	v_fmac_f32_e32 v118, 0x3f737871, v86
	v_fmac_f32_e32 v117, 0x3e9e377a, v28
	v_fmac_f32_e32 v24, 0x3e9e377a, v28
	v_fmamk_f32 v121, v80, 0x3f737871, v25
	v_fmac_f32_e32 v120, 0xbf167918, v80
	v_fmac_f32_e32 v25, 0xbf737871, v80
	;; [unrolled: 1-line block ×3, first 2 shown]
	v_dual_add_f32 v80, v104, v87 :: v_dual_add_f32 v87, v95, v26
	v_add_f32_e32 v28, v66, v82
	s_delay_alu instid0(VALU_DEP_4) | instskip(NEXT) | instid1(VALU_DEP_4)
	v_fmac_f32_e32 v25, 0x3f167918, v86
	v_fmac_f32_e32 v118, 0x3e9e377a, v103
	s_delay_alu instid0(VALU_DEP_4)
	v_dual_fmac_f32 v121, 0xbf167918, v86 :: v_dual_add_f32 v66, v87, v20
	v_fmac_f32_e32 v120, 0x3e9e377a, v103
	v_add_f32_e32 v28, v36, v28
	v_fmac_f32_e32 v25, 0x3e9e377a, v80
	v_mul_f32_e32 v82, 0x3e9e377a, v24
	v_add_f32_e32 v36, v66, v22
	v_mul_f32_e32 v66, 0x3f4f1bbd, v116
	v_dual_fmac_f32 v121, 0x3e9e377a, v80 :: v_dual_mul_f32 v80, 0x3e9e377a, v117
	v_add_f32_e32 v28, v30, v28
	v_fma_f32 v30, 0x3f737871, v25, -v82
	s_delay_alu instid0(VALU_DEP_4)
	v_fmac_f32_e32 v66, 0x3f167918, v120
	v_mul_f32_e32 v82, 0x3f4f1bbd, v113
	v_fmac_f32_e32 v80, 0x3f737871, v121
	v_add_f32_e32 v86, v36, v28
	v_sub_f32_e32 v108, v36, v28
	v_add_f32_e32 v87, v100, v66
	v_sub_f32_e32 v103, v100, v66
	v_mul_i32_i24_e32 v66, 10, v42
	v_fma_f32 v82, 0x3f167918, v118, -v82
	v_add_f32_e32 v28, v16, v12
	v_sub_f32_e32 v104, v105, v80
	v_dual_add_f32 v105, v105, v80 :: v_dual_add_f32 v106, v8, v30
	v_lshl_add_u32 v100, v66, 2, 0
	v_add_f32_e32 v107, v74, v82
	ds_store_2addr_b64 v112, v[88:89], v[96:97] offset1:1
	ds_store_2addr_b64 v112, v[98:99], v[90:91] offset0:2 offset1:3
	ds_store_b64 v112, v[101:102] offset:32
	ds_store_2addr_b64 v100, v[86:87], v[105:106] offset1:1
	ds_store_2addr_b64 v100, v[107:108], v[103:104] offset0:2 offset1:3
	v_sub_f32_e32 v36, v10, v16
	v_sub_f32_e32 v66, v4, v12
	v_sub_f32_e32 v86, v8, v30
	v_add_f32_e32 v8, v10, v4
	v_fma_f32 v28, -0.5, v28, v2
	v_dual_sub_f32 v30, v11, v5 :: v_dual_sub_f32 v87, v74, v82
	v_add_f32_e32 v36, v36, v66
	v_add_f32_e32 v66, v2, v10
	v_fmac_f32_e32 v2, -0.5, v8
	v_sub_f32_e32 v8, v17, v13
	v_fmamk_f32 v74, v30, 0x3f737871, v28
	v_fmac_f32_e32 v28, 0xbf737871, v30
	v_sub_f32_e32 v80, v16, v10
	v_sub_f32_e32 v82, v12, v4
	v_fmamk_f32 v90, v8, 0xbf737871, v2
	v_fmac_f32_e32 v74, 0x3f167918, v8
	v_fmac_f32_e32 v2, 0x3f737871, v8
	;; [unrolled: 1-line block ×3, first 2 shown]
	v_add_f32_e32 v8, v18, v32
	v_add_f32_e32 v80, v80, v82
	v_fmac_f32_e32 v90, 0x3f167918, v30
	v_fmac_f32_e32 v2, 0xbf167918, v30
	s_wait_loadcnt 0x0
	v_sub_f32_e32 v30, v85, v15
	v_fma_f32 v8, -0.5, v8, v6
	v_fmac_f32_e32 v74, 0x3e9e377a, v36
	v_fmac_f32_e32 v28, 0x3e9e377a, v36
	;; [unrolled: 1-line block ×4, first 2 shown]
	v_sub_f32_e32 v36, v84, v32
	v_sub_f32_e32 v80, v14, v18
	v_add_f32_e32 v82, v14, v84
	v_dual_fmamk_f32 v107, v30, 0x3f737871, v8 :: v_dual_sub_f32 v88, v33, v19
	v_fmac_f32_e32 v8, 0xbf737871, v30
	s_delay_alu instid0(VALU_DEP_4) | instskip(SKIP_1) | instid1(VALU_DEP_4)
	v_add_f32_e32 v36, v80, v36
	v_add_f32_e32 v80, v84, v6
	v_dual_fmac_f32 v6, -0.5, v82 :: v_dual_fmac_f32 v107, 0x3f167918, v88
	s_delay_alu instid0(VALU_DEP_4) | instskip(SKIP_1) | instid1(VALU_DEP_3)
	v_fmac_f32_e32 v8, 0xbf167918, v88
	v_dual_sub_f32 v82, v32, v84 :: v_dual_sub_f32 v89, v18, v14
	v_fmamk_f32 v108, v88, 0xbf737871, v6
	s_delay_alu instid0(VALU_DEP_4) | instskip(NEXT) | instid1(VALU_DEP_4)
	v_fmac_f32_e32 v107, 0x3e9e377a, v36
	v_fmac_f32_e32 v8, 0x3e9e377a, v36
	;; [unrolled: 1-line block ×3, first 2 shown]
	v_add_f32_e32 v36, v89, v82
	v_add_f32_e32 v82, v19, v33
	v_fmac_f32_e32 v108, 0x3f167918, v30
	v_sub_f32_e32 v88, v85, v33
	v_fmac_f32_e32 v6, 0xbf167918, v30
	v_add_f32_e32 v30, v15, v85
	v_fma_f32 v122, -0.5, v82, v7
	v_dual_sub_f32 v82, v84, v14 :: v_dual_sub_f32 v89, v15, v19
	v_sub_f32_e32 v85, v33, v85
	s_delay_alu instid0(VALU_DEP_4) | instskip(SKIP_1) | instid1(VALU_DEP_4)
	v_fmac_f32_e32 v7, -0.5, v30
	v_sub_f32_e32 v30, v32, v18
	v_fmamk_f32 v124, v82, 0xbf737871, v122
	v_add_f32_e32 v84, v89, v88
	v_add_f32_e32 v32, v32, v80
	v_fmac_f32_e32 v122, 0x3f737871, v82
	v_sub_f32_e32 v88, v19, v15
	v_fmac_f32_e32 v124, 0xbf167918, v30
	v_fmamk_f32 v125, v30, 0x3f737871, v7
	v_dual_fmac_f32 v7, 0xbf737871, v30 :: v_dual_add_f32 v66, v66, v16
	v_add_f32_e32 v18, v18, v32
	s_delay_alu instid0(VALU_DEP_4)
	v_fmac_f32_e32 v124, 0x3e9e377a, v84
	v_mul_f32_e32 v32, 0x3f4f1bbd, v107
	v_fmac_f32_e32 v122, 0x3f167918, v30
	v_dual_add_f32 v30, v88, v85 :: v_dual_fmac_f32 v125, 0xbf167918, v82
	v_fmac_f32_e32 v7, 0x3f167918, v82
	v_fmac_f32_e32 v108, 0x3e9e377a, v36
	;; [unrolled: 1-line block ×3, first 2 shown]
	v_add_f32_e32 v36, v66, v12
	v_fmac_f32_e32 v32, 0x3f167918, v124
	v_fmac_f32_e32 v125, 0x3e9e377a, v30
	;; [unrolled: 1-line block ×3, first 2 shown]
	v_mul_f32_e32 v66, 0x3e9e377a, v6
	v_add_f32_e32 v30, v36, v4
	v_mul_f32_e32 v36, 0x3e9e377a, v108
	v_add_f32_e32 v14, v14, v18
	v_add_f32_e32 v85, v74, v32
	v_sub_f32_e32 v88, v74, v32
	v_mul_i32_i24_e32 v32, 10, v44
	v_fmac_f32_e32 v122, 0x3e9e377a, v84
	v_fmac_f32_e32 v36, 0x3f737871, v125
	v_fma_f32 v18, 0x3f737871, v7, -v66
	v_add_f32_e32 v84, v30, v14
	v_mul_f32_e32 v66, 0x3f4f1bbd, v8
	v_sub_f32_e32 v96, v30, v14
	v_lshl_add_u32 v101, v32, 2, 0
	v_add_f32_e32 v30, v29, v73
	v_dual_add_f32 v32, v77, v69 :: v_dual_sub_f32 v89, v90, v36
	v_fma_f32 v66, 0x3f167918, v122, -v66
	v_add_f32_e32 v90, v90, v36
	v_add_f32_e32 v91, v2, v18
	v_add_f32_e32 v30, v30, v77
	v_sub_f32_e32 v36, v76, v68
	v_sub_f32_e32 v68, v2, v18
	v_fma_f32 v2, -0.5, v32, v29
	v_dual_add_f32 v95, v28, v66 :: v_dual_sub_f32 v74, v73, v77
	v_sub_f32_e32 v76, v77, v73
	v_add_f32_e32 v30, v30, v69
	v_sub_f32_e32 v73, v71, v69
	v_sub_f32_e32 v77, v69, v71
	;; [unrolled: 1-line block ×3, first 2 shown]
	v_dual_fmac_f32 v29, -0.5, v72 :: v_dual_fmamk_f32 v28, v70, 0xbf737871, v2
	v_fmac_f32_e32 v2, 0x3f737871, v70
	v_add_f32_e32 v14, v83, v94
	v_add_f32_e32 v32, v74, v73
	s_delay_alu instid0(VALU_DEP_4)
	v_fmamk_f32 v66, v36, 0x3f737871, v29
	v_fmac_f32_e32 v29, 0xbf737871, v36
	v_fmac_f32_e32 v28, 0xbf167918, v36
	;; [unrolled: 1-line block ×3, first 2 shown]
	v_add_f32_e32 v14, v81, v14
	v_add_f32_e32 v30, v30, v71
	v_dual_mul_f32 v71, 0x3e9e377a, v79 :: v_dual_add_f32 v36, v76, v77
	v_fmac_f32_e32 v66, 0xbf167918, v70
	v_fmac_f32_e32 v29, 0x3f167918, v70
	;; [unrolled: 1-line block ×4, first 2 shown]
	v_mul_f32_e32 v32, 0xbf167918, v52
	v_mul_f32_e32 v52, 0xbf737871, v54
	;; [unrolled: 1-line block ×3, first 2 shown]
	v_add_f32_e32 v14, v75, v14
	v_fma_f32 v18, 0xbf737871, v78, -v71
	v_fmac_f32_e32 v66, 0x3e9e377a, v36
	v_fmac_f32_e32 v29, 0x3e9e377a, v36
	;; [unrolled: 1-line block ×4, first 2 shown]
	v_fma_f32 v36, 0xbf167918, v49, -v54
	ds_store_b64 v100, v[86:87] offset:32
	ds_store_2addr_b64 v101, v[84:85], v[90:91] offset1:1
	ds_store_2addr_b64 v101, v[95:96], v[88:89] offset0:2 offset1:3
	v_dual_add_f32 v92, v30, v14 :: v_dual_add_f32 v93, v28, v32
	v_dual_add_f32 v96, v66, v52 :: v_dual_add_f32 v97, v29, v18
	v_sub_f32_e32 v99, v30, v14
	v_lshl_add_u32 v103, v60, 2, 0
	v_add_f32_e32 v14, v9, v35
	v_sub_f32_e32 v94, v28, v32
	v_sub_f32_e32 v95, v66, v52
	v_add_f32_e32 v98, v2, v36
	v_lshl_add_u32 v104, v48, 2, 0
	v_lshl_add_u32 v105, v64, 2, 0
	v_dual_sub_f32 v28, v29, v18 :: v_dual_sub_f32 v29, v2, v36
	v_mad_i32_i24 v49, 0xffffffdc, v44, v101
	v_mad_i32_i24 v52, 0xffffffdc, v42, v100
	ds_store_b64 v101, v[68:69] offset:32
	s_load_b64 s[2:3], s[2:3], 0x0
	global_wb scope:SCOPE_SE
	s_wait_dscnt 0x0
	s_wait_kmcnt 0x0
	s_barrier_signal -1
	s_barrier_wait -1
	global_inv scope:SCOPE_SE
	v_mad_i32_i24 v102, 0xffffffdc, v0, v112
	v_lshl_add_u32 v106, v62, 2, 0
	ds_load_b32 v115, v103
	ds_load_b32 v114, v104
	ds_load_b32 v109, v105
	ds_load_b32 v110, v49
	ds_load_b32 v111, v52
	ds_load_b32 v56, v106
	ds_load_2addr_stride64_b32 v[68:69], v102 offset1:12
	ds_load_2addr_stride64_b32 v[76:77], v102 offset0:28 offset1:30
	ds_load_2addr_stride64_b32 v[86:87], v102 offset0:40 offset1:42
	;; [unrolled: 1-line block ×11, first 2 shown]
	global_wb scope:SCOPE_SE
	s_wait_dscnt 0x0
	s_barrier_signal -1
	s_barrier_wait -1
	global_inv scope:SCOPE_SE
	ds_store_2addr_b64 v112, v[92:93], v[96:97] offset1:1
	ds_store_2addr_b64 v112, v[98:99], v[94:95] offset0:2 offset1:3
	ds_store_b64 v112, v[28:29] offset:32
	v_add_f32_e32 v14, v14, v27
	v_add_f32_e32 v18, v27, v21
	;; [unrolled: 1-line block ×3, first 2 shown]
	v_sub_f32_e32 v20, v26, v20
	v_sub_f32_e32 v22, v34, v22
	v_add_f32_e32 v14, v14, v21
	v_mul_f32_e32 v25, 0x3e9e377a, v25
	v_fma_f32 v18, -0.5, v18, v9
	v_dual_fmac_f32 v9, -0.5, v28 :: v_dual_sub_f32 v26, v35, v27
	v_sub_f32_e32 v27, v27, v35
	v_sub_f32_e32 v29, v23, v21
	v_sub_f32_e32 v21, v21, v23
	v_add_f32_e32 v14, v14, v23
	v_fma_f32 v23, 0xbf737871, v24, -v25
	v_fmamk_f32 v28, v22, 0xbf737871, v18
	v_dual_fmac_f32 v18, 0x3f737871, v22 :: v_dual_fmamk_f32 v25, v20, 0x3f737871, v9
	v_dual_fmac_f32 v9, 0xbf737871, v20 :: v_dual_add_f32 v2, v67, v119
	v_add_f32_e32 v24, v26, v29
	s_delay_alu instid0(VALU_DEP_4) | instskip(NEXT) | instid1(VALU_DEP_4)
	v_fmac_f32_e32 v28, 0xbf167918, v20
	v_fmac_f32_e32 v18, 0x3f167918, v20
	s_delay_alu instid0(VALU_DEP_4)
	v_dual_add_f32 v20, v27, v21 :: v_dual_fmac_f32 v9, 0x3f167918, v22
	v_add_f32_e32 v2, v37, v2
	v_fmac_f32_e32 v25, 0xbf167918, v22
	v_fmac_f32_e32 v28, 0x3e9e377a, v24
	;; [unrolled: 1-line block ×3, first 2 shown]
	v_mul_f32_e32 v24, 0xbf737871, v117
	v_mul_f32_e32 v26, 0xbf167918, v116
	;; [unrolled: 1-line block ×3, first 2 shown]
	v_dual_fmac_f32 v9, 0x3e9e377a, v20 :: v_dual_add_f32 v2, v31, v2
	s_delay_alu instid0(VALU_DEP_4) | instskip(NEXT) | instid1(VALU_DEP_4)
	v_dual_fmac_f32 v25, 0x3e9e377a, v20 :: v_dual_fmac_f32 v24, 0x3e9e377a, v121
	v_fmac_f32_e32 v26, 0x3f4f1bbd, v120
	s_delay_alu instid0(VALU_DEP_4) | instskip(NEXT) | instid1(VALU_DEP_4)
	v_fma_f32 v31, 0xbf167918, v113, -v21
	v_add_f32_e32 v21, v9, v23
	v_sub_f32_e32 v22, v9, v23
	v_dual_add_f32 v9, v3, v11 :: v_dual_add_f32 v20, v25, v24
	v_dual_sub_f32 v25, v25, v24 :: v_dual_sub_f32 v24, v28, v26
	v_add_f32_e32 v27, v28, v26
	v_add_f32_e32 v26, v14, v2
	v_sub_f32_e32 v29, v14, v2
	v_add_f32_e32 v9, v9, v17
	v_add_f32_e32 v14, v17, v13
	v_sub_f32_e32 v4, v10, v4
	v_add_f32_e32 v28, v18, v31
	v_sub_f32_e32 v23, v18, v31
	v_add_f32_e32 v9, v9, v13
	v_fma_f32 v14, -0.5, v14, v3
	v_sub_f32_e32 v12, v16, v12
	v_dual_sub_f32 v16, v11, v17 :: v_dual_sub_f32 v17, v17, v11
	v_add_f32_e32 v10, v11, v5
	v_sub_f32_e32 v11, v5, v13
	v_sub_f32_e32 v13, v13, v5
	v_dual_add_f32 v18, v9, v5 :: v_dual_fmamk_f32 v5, v4, 0xbf737871, v14
	v_fmac_f32_e32 v14, 0x3f737871, v4
	v_mul_f32_e32 v7, 0x3e9e377a, v7
	v_fmac_f32_e32 v3, -0.5, v10
	v_add_f32_e32 v9, v16, v11
	v_fmac_f32_e32 v5, 0xbf167918, v12
	v_fmac_f32_e32 v14, 0x3f167918, v12
	v_fma_f32 v10, 0xbf737871, v6, -v7
	v_fmamk_f32 v7, v12, 0x3f737871, v3
	v_fmac_f32_e32 v3, 0xbf737871, v12
	v_fmac_f32_e32 v5, 0x3e9e377a, v9
	;; [unrolled: 1-line block ×3, first 2 shown]
	v_mul_f32_e32 v9, 0xbf167918, v107
	v_dual_add_f32 v30, v33, v123 :: v_dual_and_b32 v107, 0xffff, v44
	v_fmac_f32_e32 v7, 0xbf167918, v4
	v_dual_fmac_f32 v3, 0x3f167918, v4 :: v_dual_add_f32 v6, v17, v13
	s_delay_alu instid0(VALU_DEP_3) | instskip(NEXT) | instid1(VALU_DEP_4)
	v_mul_u32_u24_e32 v4, 0xcccd, v107
	v_dual_add_f32 v2, v19, v30 :: v_dual_mul_f32 v11, 0xbf737871, v108
	v_mul_f32_e32 v12, 0x3f4f1bbd, v122
	v_and_b32_e32 v108, 0xffff, v64
	s_delay_alu instid0(VALU_DEP_4) | instskip(NEXT) | instid1(VALU_DEP_4)
	v_lshrrev_b32_e32 v116, 19, v4
	v_dual_add_f32 v2, v15, v2 :: v_dual_fmac_f32 v9, 0x3f4f1bbd, v124
	v_fmac_f32_e32 v3, 0x3e9e377a, v6
	v_fma_f32 v13, 0xbf167918, v8, -v12
	s_delay_alu instid0(VALU_DEP_4)
	v_mul_lo_u16 v12, v116, 10
	v_mul_u32_u24_e32 v15, 0xcccd, v108
	v_fmac_f32_e32 v11, 0x3e9e377a, v125
	v_dual_fmac_f32 v7, 0x3e9e377a, v6 :: v_dual_add_f32 v4, v5, v9
	v_dual_sub_f32 v5, v5, v9 :: v_dual_add_f32 v8, v3, v10
	v_sub_f32_e32 v9, v3, v10
	v_sub_nc_u16 v10, v44, v12
	v_lshrrev_b32_e32 v117, 19, v15
	v_sub_f32_e32 v6, v7, v11
	v_add_f32_e32 v7, v7, v11
	s_delay_alu instid0(VALU_DEP_4)
	v_dual_add_f32 v11, v14, v13 :: v_dual_and_b32 v120, 0xffff, v10
	v_sub_f32_e32 v10, v14, v13
	v_mul_lo_u16 v13, v117, 10
	v_dual_add_f32 v3, v18, v2 :: v_dual_and_b32 v54, 0xff, v0
	v_sub_f32_e32 v12, v18, v2
	ds_store_2addr_b64 v100, v[26:27], v[20:21] offset1:1
	ds_store_2addr_b64 v100, v[28:29], v[24:25] offset0:2 offset1:3
	ds_store_b64 v100, v[22:23] offset:32
	ds_store_2addr_b64 v101, v[3:4], v[7:8] offset1:1
	ds_store_2addr_b64 v101, v[11:12], v[5:6] offset0:2 offset1:3
	v_sub_nc_u16 v3, v64, v13
	v_mul_lo_u16 v4, 0xcd, v54
	v_mul_u32_u24_e32 v2, 5, v120
	v_and_b32_e32 v113, 0xff, v42
	ds_store_b64 v101, v[9:10] offset:32
	v_and_b32_e32 v118, 0xffff, v3
	v_lshrrev_b16 v129, 11, v4
	v_lshlrev_b32_e32 v92, 3, v2
	global_wb scope:SCOPE_SE
	s_wait_dscnt 0x0
	s_barrier_signal -1
	v_mul_u32_u24_e32 v2, 5, v118
	v_mul_lo_u16 v3, v129, 10
	s_barrier_wait -1
	global_inv scope:SCOPE_SE
	s_clause 0x1
	global_load_b128 v[133:136], v92, s[8:9]
	global_load_b128 v[14:17], v92, s[8:9] offset:16
	v_lshlrev_b32_e32 v93, 3, v2
	v_sub_nc_u16 v2, v0, v3
	v_mul_lo_u16 v3, 0xcd, v113
	v_and_b32_e32 v112, 0xffff, v62
	global_load_b128 v[6:9], v93, s[8:9]
	v_and_b32_e32 v132, 0xff, v2
	v_lshrrev_b16 v131, 11, v3
	v_mul_u32_u24_e32 v11, 0xcccd, v112
	s_delay_alu instid0(VALU_DEP_3) | instskip(NEXT) | instid1(VALU_DEP_3)
	v_mul_u32_u24_e32 v2, 5, v132
	v_mul_lo_u16 v3, v131, 10
	s_delay_alu instid0(VALU_DEP_3) | instskip(NEXT) | instid1(VALU_DEP_3)
	v_lshrrev_b32_e32 v127, 19, v11
	v_lshlrev_b32_e32 v30, 3, v2
	s_delay_alu instid0(VALU_DEP_3) | instskip(SKIP_4) | instid1(VALU_DEP_1)
	v_sub_nc_u16 v10, v42, v3
	s_clause 0x1
	global_load_b128 v[2:5], v30, s[8:9]
	global_load_b128 v[26:29], v30, s[8:9] offset:16
	v_and_b32_e32 v130, 0xff, v10
	v_mul_u32_u24_e32 v10, 5, v130
	s_delay_alu instid0(VALU_DEP_1) | instskip(SKIP_3) | instid1(VALU_DEP_1)
	v_lshlrev_b32_e32 v94, 3, v10
	v_mul_lo_u16 v10, v127, 10
	global_load_b128 v[22:25], v94, s[8:9] offset:16
	v_sub_nc_u16 v10, v62, v10
	v_and_b32_e32 v126, 0xffff, v10
	global_load_b128 v[10:13], v93, s[8:9] offset:16
	v_mul_u32_u24_e32 v18, 5, v126
	s_delay_alu instid0(VALU_DEP_1)
	v_lshlrev_b32_e32 v119, 3, v18
	s_clause 0x7
	global_load_b128 v[18:21], v119, s[8:9] offset:16
	global_load_b64 v[66:67], v30, s[8:9] offset:32
	global_load_b128 v[34:37], v119, s[8:9]
	global_load_b128 v[30:33], v94, s[8:9]
	global_load_b64 v[94:95], v94, s[8:9] offset:32
	global_load_b64 v[96:97], v92, s[8:9] offset:32
	;; [unrolled: 1-line block ×4, first 2 shown]
	ds_load_2addr_stride64_b32 v[137:138], v102 offset0:14 offset1:16
	ds_load_2addr_stride64_b32 v[139:140], v102 offset0:24 offset1:26
	ds_load_b32 v141, v103
	ds_load_b32 v142, v104
	s_wait_loadcnt_dscnt 0xe02
	v_mul_f32_e32 v123, v139, v136
	v_mul_f32_e32 v125, v88, v136
	;; [unrolled: 1-line block ×4, first 2 shown]
	s_delay_alu instid0(VALU_DEP_4) | instskip(NEXT) | instid1(VALU_DEP_4)
	v_fma_f32 v124, v88, v135, -v123
	v_fmac_f32_e32 v125, v139, v135
	ds_load_2addr_stride64_b32 v[134:135], v102 offset0:28 offset1:30
	v_fma_f32 v121, v90, v133, -v119
	s_wait_loadcnt 0xc
	v_mul_f32_e32 v90, v138, v7
	v_dual_fmac_f32 v122, v137, v133 :: v_dual_mul_f32 v119, v91, v7
	v_mul_f32_e32 v7, v140, v9
	ds_load_2addr_stride64_b32 v[136:137], v102 offset0:40 offset1:42
	v_fma_f32 v90, v91, v6, -v90
	v_mul_f32_e32 v91, v89, v9
	v_fmac_f32_e32 v119, v138, v6
	v_fma_f32 v89, v89, v8, -v7
	ds_load_b32 v123, v105
	ds_load_b32 v88, v106
	;; [unrolled: 1-line block ×4, first 2 shown]
	ds_load_2addr_stride64_b32 v[6:7], v102 offset0:32 offset1:34
	v_fmac_f32_e32 v91, v140, v8
	s_wait_loadcnt_dscnt 0xb08
	v_mul_f32_e32 v9, v141, v3
	s_wait_dscnt 0x7
	v_dual_mul_f32 v138, v115, v3 :: v_dual_mul_f32 v3, v142, v5
	v_mul_f32_e32 v139, v114, v5
	s_wait_loadcnt_dscnt 0xa06
	v_mul_f32_e32 v5, v135, v27
	v_fma_f32 v115, v115, v2, -v9
	v_fmac_f32_e32 v138, v141, v2
	v_fma_f32 v114, v114, v4, -v3
	ds_load_2addr_stride64_b32 v[2:3], v102 offset0:44 offset1:46
	s_wait_dscnt 0x6
	v_dual_mul_f32 v27, v77, v27 :: v_dual_mul_f32 v8, v136, v29
	v_fmac_f32_e32 v139, v142, v4
	v_fma_f32 v77, v77, v26, -v5
	ds_load_2addr_stride64_b32 v[4:5], v102 offset0:36 offset1:38
	v_mul_f32_e32 v29, v86, v29
	v_fmac_f32_e32 v27, v135, v26
	v_fma_f32 v26, v86, v28, -v8
	s_wait_loadcnt_dscnt 0x902
	v_dual_mul_f32 v8, v137, v25 :: v_dual_mul_f32 v9, v6, v23
	v_dual_mul_f32 v86, v87, v25 :: v_dual_mul_f32 v135, v84, v23
	v_fmac_f32_e32 v29, v136, v28
	s_delay_alu instid0(VALU_DEP_3) | instskip(NEXT) | instid1(VALU_DEP_4)
	v_fma_f32 v28, v87, v24, -v8
	v_fma_f32 v84, v84, v22, -v9
	ds_load_2addr_stride64_b32 v[8:9], v102 offset0:48 offset1:50
	v_dual_fmac_f32 v86, v137, v24 :: v_dual_fmac_f32 v135, v6, v22
	v_mul_f32_e32 v6, v7, v15
	s_wait_dscnt 0x2
	v_dual_mul_f32 v15, v85, v15 :: v_dual_mul_f32 v22, v2, v17
	v_mul_f32_e32 v87, v82, v17
	s_wait_loadcnt 0x8
	v_mul_f32_e32 v17, v3, v13
	v_fma_f32 v85, v85, v14, -v6
	s_wait_loadcnt 0x7
	v_dual_fmac_f32 v15, v7, v14 :: v_dual_mul_f32 v14, v81, v19
	v_fmac_f32_e32 v87, v2, v16
	v_fma_f32 v136, v83, v12, -v17
	s_wait_dscnt 0x1
	v_dual_mul_f32 v83, v83, v13 :: v_dual_mul_f32 v2, v4, v11
	v_mul_f32_e32 v11, v80, v11
	ds_load_2addr_stride64_b32 v[6:7], v102 offset0:18 offset1:22
	v_mul_f32_e32 v13, v5, v19
	v_fmac_f32_e32 v83, v3, v12
	v_fma_f32 v12, v80, v10, -v2
	v_fmac_f32_e32 v11, v4, v10
	v_dual_mul_f32 v25, v78, v21 :: v_dual_fmac_f32 v14, v5, v18
	ds_load_2addr_stride64_b32 v[2:3], v102 offset1:12
	ds_load_2addr_stride64_b32 v[4:5], v102 offset0:52 offset1:54
	s_wait_loadcnt 0x6
	v_mul_f32_e32 v17, v79, v67
	v_fma_f32 v82, v82, v16, -v22
	v_fma_f32 v10, v81, v18, -v13
	s_wait_dscnt 0x3
	v_dual_mul_f32 v13, v8, v21 :: v_dual_mul_f32 v16, v9, v67
	v_fmac_f32_e32 v25, v8, v20
	v_fmac_f32_e32 v17, v9, v66
	ds_load_2addr_stride64_b32 v[8:9], v102 offset0:56 offset1:58
	v_fma_f32 v81, v78, v20, -v13
	s_wait_loadcnt 0x5
	v_mul_f32_e32 v13, v134, v37
	v_mul_f32_e32 v23, v74, v35
	s_wait_dscnt 0x3
	v_dual_mul_f32 v137, v76, v37 :: v_dual_mul_f32 v18, v6, v35
	s_wait_loadcnt 0x4
	v_mul_f32_e32 v19, v7, v33
	v_fma_f32 v140, v76, v36, -v13
	v_fmac_f32_e32 v23, v6, v34
	v_mul_f32_e32 v33, v75, v33
	v_fma_f32 v16, v79, v66, -v16
	s_wait_dscnt 0x2
	v_mul_f32_e32 v6, v3, v31
	v_mul_f32_e32 v31, v69, v31
	s_wait_loadcnt_dscnt 0x301
	v_mul_f32_e32 v13, v4, v95
	v_fmac_f32_e32 v137, v134, v36
	v_fma_f32 v134, v75, v32, -v19
	v_mul_f32_e32 v95, v70, v95
	v_fmac_f32_e32 v33, v7, v32
	v_fma_f32 v32, v69, v30, -v6
	v_fmac_f32_e32 v31, v3, v30
	v_fma_f32 v3, v70, v94, -v13
	s_wait_loadcnt 0x2
	v_mul_f32_e32 v30, v71, v97
	s_wait_loadcnt_dscnt 0x100
	v_mul_f32_e32 v6, v8, v99
	s_wait_loadcnt 0x0
	v_dual_mul_f32 v70, v72, v99 :: v_dual_mul_f32 v7, v9, v93
	v_dual_fmac_f32 v95, v4, v94 :: v_dual_mul_f32 v4, v5, v97
	v_fmac_f32_e32 v30, v5, v96
	v_fma_f32 v5, v72, v98, -v6
	s_delay_alu instid0(VALU_DEP_4)
	v_fmac_f32_e32 v70, v8, v98
	v_fma_f32 v6, v73, v92, -v7
	v_dual_add_f32 v7, v77, v16 :: v_dual_add_f32 v8, v114, v26
	v_add_f32_e32 v19, v27, v17
	v_fma_f32 v22, v74, v34, -v18
	v_dual_add_f32 v13, v68, v114 :: v_dual_add_f32 v18, v115, v77
	s_delay_alu instid0(VALU_DEP_4) | instskip(SKIP_4) | instid1(VALU_DEP_4)
	v_fmac_f32_e32 v115, -0.5, v7
	v_dual_sub_f32 v7, v27, v17 :: v_dual_fmac_f32 v68, -0.5, v8
	v_add_f32_e32 v8, v138, v27
	v_dual_fmac_f32 v138, -0.5, v19 :: v_dual_sub_f32 v19, v77, v16
	v_add_f32_e32 v21, v139, v29
	v_fmamk_f32 v20, v7, 0x3f5db3d7, v115
	v_fmac_f32_e32 v115, 0xbf5db3d7, v7
	v_sub_f32_e32 v7, v139, v29
	v_fmamk_f32 v27, v19, 0xbf5db3d7, v138
	v_fmac_f32_e32 v138, 0x3f5db3d7, v19
	v_add_f32_e32 v34, v2, v139
	v_dual_fmac_f32 v2, -0.5, v21 :: v_dual_sub_f32 v21, v114, v26
	s_delay_alu instid0(VALU_DEP_3) | instskip(SKIP_2) | instid1(VALU_DEP_4)
	v_dual_fmamk_f32 v35, v7, 0x3f5db3d7, v68 :: v_dual_mul_f32 v36, -0.5, v138
	v_fmac_f32_e32 v68, 0xbf5db3d7, v7
	v_and_b32_e32 v7, 0xffff, v129
	v_fmamk_f32 v72, v21, 0xbf5db3d7, v2
	v_dual_fmac_f32 v2, 0x3f5db3d7, v21 :: v_dual_mul_f32 v21, 0x3f5db3d7, v27
	v_mul_f32_e32 v24, v73, v93
	v_fmac_f32_e32 v36, 0xbf5db3d7, v115
	v_mul_u32_u24_e32 v7, 0xf0, v7
	v_lshlrev_b32_e32 v37, 2, v132
	v_dual_add_f32 v13, v13, v26 :: v_dual_add_f32 v16, v18, v16
	v_fmac_f32_e32 v21, 0.5, v20
	v_fmac_f32_e32 v24, v9, v92
	v_add_f32_e32 v26, v2, v36
	v_sub_f32_e32 v92, v2, v36
	v_add3_u32 v93, 0, v7, v37
	v_dual_add_f32 v2, v13, v16 :: v_dual_add_f32 v7, v35, v21
	global_wb scope:SCOPE_SE
	s_barrier_signal -1
	s_barrier_wait -1
	global_inv scope:SCOPE_SE
	ds_store_2addr_b32 v93, v2, v7 offset1:10
	v_dual_sub_f32 v2, v13, v16 :: v_dual_add_f32 v13, v84, v3
	v_sub_f32_e32 v7, v35, v21
	v_dual_add_f32 v18, v135, v95 :: v_dual_add_f32 v35, v32, v84
	v_sub_f32_e32 v36, v135, v95
	s_delay_alu instid0(VALU_DEP_4) | instskip(SKIP_1) | instid1(VALU_DEP_4)
	v_fmac_f32_e32 v32, -0.5, v13
	v_fma_f32 v4, v71, v96, -v4
	v_dual_add_f32 v94, v31, v135 :: v_dual_fmac_f32 v31, -0.5, v18
	v_sub_f32_e32 v13, v84, v3
	s_delay_alu instid0(VALU_DEP_4) | instskip(SKIP_2) | instid1(VALU_DEP_4)
	v_fmamk_f32 v96, v36, 0x3f5db3d7, v32
	v_fmac_f32_e32 v32, 0xbf5db3d7, v36
	v_dual_add_f32 v16, v134, v28 :: v_dual_mul_f32 v19, -0.5, v115
	v_fmamk_f32 v84, v13, 0xbf5db3d7, v31
	v_fmac_f32_e32 v31, 0x3f5db3d7, v13
	s_delay_alu instid0(VALU_DEP_4)
	v_mul_f32_e32 v13, -0.5, v32
	v_dual_add_f32 v21, v111, v134 :: v_dual_and_b32 v18, 0xffff, v131
	v_fmac_f32_e32 v111, -0.5, v16
	v_add_f32_e32 v3, v35, v3
	v_mul_f32_e32 v35, 0x3f5db3d7, v84
	v_fmac_f32_e32 v13, 0x3f5db3d7, v31
	v_dual_mul_f32 v31, -0.5, v31 :: v_dual_sub_f32 v36, v33, v86
	v_fmac_f32_e32 v19, 0x3f5db3d7, v138
	v_mul_u32_u24_e32 v16, 0xf0, v18
	v_dual_add_f32 v21, v21, v28 :: v_dual_lshlrev_b32 v18, 2, v130
	v_fmac_f32_e32 v35, 0.5, v96
	v_fmamk_f32 v37, v36, 0x3f5db3d7, v111
	v_fmac_f32_e32 v111, 0xbf5db3d7, v36
	v_add_f32_e32 v9, v68, v19
	v_sub_f32_e32 v19, v68, v19
	v_add3_u32 v97, 0, v16, v18
	v_add_f32_e32 v16, v21, v3
	v_add_f32_e32 v18, v37, v35
	v_sub_f32_e32 v3, v21, v3
	v_add_f32_e32 v21, v111, v13
	v_sub_f32_e32 v35, v37, v35
	v_sub_f32_e32 v13, v111, v13
	ds_store_2addr_b32 v93, v9, v2 offset0:20 offset1:30
	ds_store_2addr_b32 v93, v7, v19 offset0:40 offset1:50
	ds_store_2addr_b32 v97, v16, v18 offset1:10
	ds_store_2addr_b32 v97, v21, v3 offset0:20 offset1:30
	ds_store_2addr_b32 v97, v35, v13 offset0:40 offset1:50
	v_add_f32_e32 v3, v15, v30
	v_dual_add_f32 v9, v85, v4 :: v_dual_add_f32 v98, v122, v15
	v_dual_add_f32 v2, v124, v82 :: v_dual_add_f32 v13, v121, v85
	s_delay_alu instid0(VALU_DEP_3) | instskip(NEXT) | instid1(VALU_DEP_3)
	v_dual_fmac_f32 v122, -0.5, v3 :: v_dual_sub_f32 v3, v85, v4
	v_fmac_f32_e32 v121, -0.5, v9
	v_sub_f32_e32 v9, v15, v30
	s_delay_alu instid0(VALU_DEP_4) | instskip(NEXT) | instid1(VALU_DEP_4)
	v_dual_add_f32 v7, v110, v124 :: v_dual_fmac_f32 v110, -0.5, v2
	v_dual_fmamk_f32 v85, v3, 0xbf5db3d7, v122 :: v_dual_add_f32 v2, v13, v4
	s_delay_alu instid0(VALU_DEP_3) | instskip(SKIP_2) | instid1(VALU_DEP_4)
	v_fmamk_f32 v99, v9, 0x3f5db3d7, v121
	v_fmac_f32_e32 v121, 0xbf5db3d7, v9
	v_sub_f32_e32 v15, v125, v87
	v_mul_f32_e32 v13, 0x3f5db3d7, v85
	v_mul_u32_u24_e32 v4, 0xf0, v116
	v_dual_fmac_f32 v122, 0x3f5db3d7, v3 :: v_dual_lshlrev_b32 v9, 2, v120
	v_mul_f32_e32 v3, -0.5, v121
	s_delay_alu instid0(VALU_DEP_4) | instskip(SKIP_1) | instid1(VALU_DEP_3)
	v_dual_fmac_f32 v13, 0.5, v99 :: v_dual_fmamk_f32 v16, v15, 0x3f5db3d7, v110
	v_dual_add_f32 v7, v7, v82 :: v_dual_fmac_f32 v110, 0xbf5db3d7, v15
	v_fmac_f32_e32 v3, 0x3f5db3d7, v122
	v_add3_u32 v111, 0, v4, v9
	s_delay_alu instid0(VALU_DEP_4)
	v_add_f32_e32 v9, v16, v13
	v_dual_sub_f32 v13, v16, v13 :: v_dual_add_f32 v16, v11, v70
	v_dual_add_f32 v19, v12, v5 :: v_dual_add_f32 v4, v7, v2
	v_dual_sub_f32 v2, v7, v2 :: v_dual_add_f32 v7, v110, v3
	v_sub_f32_e32 v3, v110, v3
	v_dual_add_f32 v21, v90, v12 :: v_dual_add_f32 v110, v119, v11
	v_dual_fmac_f32 v119, -0.5, v16 :: v_dual_sub_f32 v12, v12, v5
	v_dual_fmac_f32 v90, -0.5, v19 :: v_dual_sub_f32 v11, v11, v70
	v_add_f32_e32 v15, v89, v136
	v_add_f32_e32 v18, v109, v89
	s_delay_alu instid0(VALU_DEP_4) | instskip(NEXT) | instid1(VALU_DEP_4)
	v_dual_fmamk_f32 v114, v12, 0xbf5db3d7, v119 :: v_dual_sub_f32 v19, v91, v83
	v_fmamk_f32 v115, v11, 0x3f5db3d7, v90
	v_fmac_f32_e32 v90, 0xbf5db3d7, v11
	s_delay_alu instid0(VALU_DEP_3) | instskip(SKIP_1) | instid1(VALU_DEP_3)
	v_dual_fmac_f32 v109, -0.5, v15 :: v_dual_mul_f32 v16, 0x3f5db3d7, v114
	v_fmac_f32_e32 v119, 0x3f5db3d7, v12
	v_dual_add_f32 v5, v21, v5 :: v_dual_mul_f32 v12, -0.5, v90
	v_mul_u32_u24_e32 v15, 0xf0, v117
	v_dual_add_f32 v18, v18, v136 :: v_dual_lshlrev_b32 v11, 2, v118
	v_dual_fmac_f32 v16, 0.5, v115 :: v_dual_fmamk_f32 v21, v19, 0x3f5db3d7, v109
	v_fmac_f32_e32 v109, 0xbf5db3d7, v19
	v_fmac_f32_e32 v12, 0x3f5db3d7, v119
	s_delay_alu instid0(VALU_DEP_4) | instskip(SKIP_2) | instid1(VALU_DEP_4)
	v_add3_u32 v116, 0, v15, v11
	v_add_f32_e32 v11, v18, v5
	v_add_f32_e32 v15, v21, v16
	v_dual_sub_f32 v5, v18, v5 :: v_dual_add_f32 v18, v109, v12
	ds_store_2addr_b32 v111, v4, v9 offset1:10
	ds_store_2addr_b32 v111, v7, v2 offset0:20 offset1:30
	ds_store_2addr_b32 v111, v13, v3 offset0:40 offset1:50
	ds_store_2addr_b32 v116, v11, v15 offset1:10
	ds_store_2addr_b32 v116, v18, v5 offset0:20 offset1:30
	v_add_f32_e32 v9, v10, v6
	v_add_f32_e32 v11, v22, v10
	;; [unrolled: 1-line block ×3, first 2 shown]
	v_sub_f32_e32 v28, v134, v28
	s_delay_alu instid0(VALU_DEP_4) | instskip(SKIP_4) | instid1(VALU_DEP_4)
	v_dual_sub_f32 v3, v109, v12 :: v_dual_fmac_f32 v22, -0.5, v9
	v_dual_sub_f32 v9, v14, v24 :: v_dual_add_f32 v4, v140, v81
	v_add_f32_e32 v7, v56, v140
	v_sub_f32_e32 v2, v21, v16
	v_lshl_add_u32 v66, v51, 2, 0
	v_fmamk_f32 v118, v9, 0x3f5db3d7, v22
	v_dual_fmac_f32 v22, 0xbf5db3d7, v9 :: v_dual_lshlrev_b32 v9, 2, v126
	v_mul_f32_e32 v126, 0xbf5db3d7, v20
	v_fmac_f32_e32 v56, -0.5, v4
	v_dual_add_f32 v4, v11, v6 :: v_dual_sub_f32 v11, v137, v25
	s_delay_alu instid0(VALU_DEP_3) | instskip(SKIP_1) | instid1(VALU_DEP_3)
	v_dual_add_f32 v7, v7, v81 :: v_dual_fmac_f32 v126, 0.5, v27
	v_add_f32_e32 v27, v33, v86
	v_dual_add_f32 v33, v133, v33 :: v_dual_fmamk_f32 v12, v11, 0x3f5db3d7, v56
	v_fmac_f32_e32 v56, 0xbf5db3d7, v11
	v_lshl_add_u32 v34, v58, 2, 0
	s_delay_alu instid0(VALU_DEP_4) | instskip(SKIP_4) | instid1(VALU_DEP_4)
	v_fmac_f32_e32 v133, -0.5, v27
	v_mul_f32_e32 v27, 0xbf5db3d7, v96
	v_dual_add_f32 v33, v33, v86 :: v_dual_add_f32 v86, v94, v95
	v_lshl_add_u32 v67, v53, 2, 0
	v_lshl_add_u32 v35, v46, 2, 0
	v_fmac_f32_e32 v27, 0.5, v84
	v_fmamk_f32 v84, v28, 0xbf5db3d7, v133
	v_lshl_add_u32 v68, v55, 2, 0
	v_lshl_add_u32 v36, v47, 2, 0
	;; [unrolled: 1-line block ×4, first 2 shown]
	v_add_f32_e32 v95, v84, v27
	v_add_f32_e32 v5, v14, v24
	;; [unrolled: 1-line block ×3, first 2 shown]
	v_dual_add_f32 v94, v33, v86 :: v_dual_fmac_f32 v133, 0x3f5db3d7, v28
	v_fmac_f32_e32 v31, 0xbf5db3d7, v32
	s_delay_alu instid0(VALU_DEP_4) | instskip(SKIP_4) | instid1(VALU_DEP_4)
	v_fmac_f32_e32 v23, -0.5, v5
	v_sub_f32_e32 v5, v10, v6
	v_mul_u32_u24_e32 v6, 0xf0, v127
	v_add_f32_e32 v127, v8, v17
	v_add_f32_e32 v32, v128, v125
	v_dual_add_f32 v30, v98, v30 :: v_dual_fmamk_f32 v117, v5, 0xbf5db3d7, v23
	v_fmac_f32_e32 v23, 0x3f5db3d7, v5
	v_mul_f32_e32 v5, -0.5, v22
	v_add3_u32 v120, 0, v6, v9
	v_add_f32_e32 v6, v7, v4
	v_mul_f32_e32 v10, 0x3f5db3d7, v117
	s_delay_alu instid0(VALU_DEP_4) | instskip(SKIP_1) | instid1(VALU_DEP_3)
	v_dual_sub_f32 v4, v7, v4 :: v_dual_fmac_f32 v5, 0x3f5db3d7, v23
	v_add_f32_e32 v129, v29, v127
	v_dual_sub_f32 v29, v29, v127 :: v_dual_fmac_f32 v10, 0.5, v118
	v_mul_f32_e32 v23, -0.5, v23
	s_delay_alu instid0(VALU_DEP_4)
	v_add_f32_e32 v7, v56, v5
	v_sub_f32_e32 v5, v56, v5
	v_add_f32_e32 v130, v72, v126
	v_add_f32_e32 v9, v12, v10
	v_sub_f32_e32 v10, v12, v10
	ds_store_2addr_b32 v116, v2, v3 offset0:40 offset1:50
	ds_store_2addr_b32 v120, v6, v9 offset1:10
	ds_store_2addr_b32 v120, v7, v4 offset0:20 offset1:30
	ds_store_2addr_b32 v120, v10, v5 offset0:40 offset1:50
	global_wb scope:SCOPE_SE
	s_wait_dscnt 0x0
	s_barrier_signal -1
	s_barrier_wait -1
	global_inv scope:SCOPE_SE
	ds_load_b32 v75, v103
	ds_load_b32 v76, v34
	;; [unrolled: 1-line block ×14, first 2 shown]
	ds_load_2addr_stride64_b32 v[2:3], v102 offset1:30
	ds_load_2addr_stride64_b32 v[16:17], v102 offset0:32 offset1:34
	ds_load_2addr_stride64_b32 v[14:15], v102 offset0:36 offset1:38
	ds_load_2addr_stride64_b32 v[12:13], v102 offset0:40 offset1:42
	ds_load_2addr_stride64_b32 v[10:11], v102 offset0:44 offset1:46
	ds_load_2addr_stride64_b32 v[8:9], v102 offset0:48 offset1:50
	ds_load_2addr_stride64_b32 v[6:7], v102 offset0:52 offset1:54
	ds_load_2addr_stride64_b32 v[4:5], v102 offset0:56 offset1:58
	global_wb scope:SCOPE_SE
	s_wait_dscnt 0x0
	s_barrier_signal -1
	s_barrier_wait -1
	global_inv scope:SCOPE_SE
	ds_store_2addr_b32 v93, v26, v29 offset0:20 offset1:30
	v_add_f32_e32 v26, v125, v87
	v_sub_f32_e32 v72, v72, v126
	v_sub_f32_e32 v28, v33, v86
	;; [unrolled: 1-line block ×3, first 2 shown]
	ds_store_2addr_b32 v93, v129, v130 offset1:10
	v_fmac_f32_e32 v128, -0.5, v26
	v_mul_f32_e32 v26, 0xbf5db3d7, v99
	ds_store_2addr_b32 v93, v72, v92 offset0:40 offset1:50
	ds_store_2addr_b32 v97, v94, v95 offset1:10
	v_mul_f32_e32 v72, -0.5, v122
	v_add_f32_e32 v32, v32, v87
	v_fmamk_f32 v82, v33, 0xbf5db3d7, v128
	v_dual_fmac_f32 v26, 0.5, v85 :: v_dual_add_f32 v29, v133, v31
	v_fmac_f32_e32 v128, 0x3f5db3d7, v33
	v_dual_fmac_f32 v72, 0xbf5db3d7, v121 :: v_dual_sub_f32 v27, v84, v27
	v_sub_f32_e32 v31, v133, v31
	v_add_f32_e32 v33, v32, v30
	v_add_f32_e32 v84, v82, v26
	v_sub_f32_e32 v30, v32, v30
	v_add_f32_e32 v32, v128, v72
	ds_store_2addr_b32 v97, v29, v28 offset0:20 offset1:30
	ds_store_2addr_b32 v97, v27, v31 offset0:40 offset1:50
	ds_store_2addr_b32 v111, v33, v84 offset1:10
	v_add_f32_e32 v27, v91, v83
	v_add_f32_e32 v28, v123, v91
	v_mul_f32_e32 v31, -0.5, v119
	ds_store_2addr_b32 v111, v32, v30 offset0:20 offset1:30
	v_dual_sub_f32 v30, v89, v136 :: v_dual_fmac_f32 v123, -0.5, v27
	v_dual_mul_f32 v27, 0xbf5db3d7, v115 :: v_dual_sub_f32 v26, v82, v26
	v_sub_f32_e32 v29, v128, v72
	v_add_f32_e32 v28, v28, v83
	v_add_f32_e32 v32, v110, v70
	s_delay_alu instid0(VALU_DEP_4)
	v_fmac_f32_e32 v27, 0.5, v114
	v_fmamk_f32 v33, v30, 0xbf5db3d7, v123
	v_fmac_f32_e32 v123, 0x3f5db3d7, v30
	v_fmac_f32_e32 v31, 0xbf5db3d7, v90
	ds_store_2addr_b32 v111, v26, v29 offset0:40 offset1:50
	v_dual_add_f32 v26, v28, v32 :: v_dual_add_f32 v29, v33, v27
	v_sub_f32_e32 v28, v28, v32
	v_add_f32_e32 v30, v123, v31
	v_mul_lo_u16 v70, 0x89, v113
	v_sub_f32_e32 v27, v33, v27
	v_dual_sub_f32 v31, v123, v31 :: v_dual_add_f32 v32, v137, v25
	ds_store_2addr_b32 v116, v26, v29 offset1:10
	v_add_f32_e32 v26, v88, v137
	ds_store_2addr_b32 v116, v30, v28 offset0:20 offset1:30
	ds_store_2addr_b32 v116, v27, v31 offset0:40 offset1:50
	v_sub_f32_e32 v27, v140, v81
	v_lshrrev_b16 v81, 13, v70
	v_dual_fmac_f32 v88, -0.5, v32 :: v_dual_add_f32 v25, v26, v25
	v_mul_f32_e32 v26, 0xbf5db3d7, v118
	v_fmac_f32_e32 v23, 0xbf5db3d7, v22
	s_delay_alu instid0(VALU_DEP_4)
	v_mul_lo_u16 v22, v81, 60
	v_mul_u32_u24_e32 v72, 0x8889, v107
	v_add_f32_e32 v24, v109, v24
	v_fmamk_f32 v28, v27, 0xbf5db3d7, v88
	v_fmac_f32_e32 v88, 0x3f5db3d7, v27
	v_fmac_f32_e32 v26, 0.5, v117
	v_sub_nc_u16 v22, v42, v22
	v_lshrrev_b32_e32 v82, 21, v72
	v_mul_u32_u24_e32 v31, 0x8889, v108
	v_add_f32_e32 v27, v25, v24
	v_dual_sub_f32 v24, v25, v24 :: v_dual_add_f32 v25, v28, v26
	v_sub_f32_e32 v26, v28, v26
	v_dual_add_f32 v28, v88, v23 :: v_dual_and_b32 v83, 0xff, v22
	v_mul_lo_u16 v22, v82, 60
	v_lshrrev_b32_e32 v84, 21, v31
	ds_store_2addr_b32 v120, v27, v25 offset1:10
	ds_store_2addr_b32 v120, v28, v24 offset0:20 offset1:30
	v_and_b32_e32 v24, 0xffff, v60
	v_sub_nc_u16 v22, v44, v22
	v_mul_lo_u16 v25, v84, 60
	v_mul_u32_u24_e32 v32, 0x8889, v112
	v_sub_f32_e32 v23, v88, v23
	v_mul_u32_u24_e32 v33, 0x8889, v24
	v_and_b32_e32 v24, 0xffff, v58
	v_and_b32_e32 v87, 0xffff, v22
	v_sub_nc_u16 v22, v64, v25
	v_lshrrev_b32_e32 v85, 21, v32
	ds_store_2addr_b32 v120, v26, v23 offset0:40 offset1:50
	v_mul_u32_u24_e32 v30, 0x8889, v24
	v_lshlrev_b32_e32 v23, 3, v83
	v_and_b32_e32 v89, 0xffff, v22
	v_mul_lo_u16 v26, v85, 60
	v_lshrrev_b32_e32 v86, 21, v33
	v_and_b32_e32 v22, 0xffff, v46
	v_lshrrev_b32_e32 v88, 21, v30
	v_lshlrev_b32_e32 v25, 3, v87
	v_lshlrev_b32_e32 v27, 3, v89
	global_wb scope:SCOPE_SE
	s_wait_dscnt 0x0
	s_barrier_signal -1
	s_barrier_wait -1
	global_inv scope:SCOPE_SE
	v_sub_nc_u16 v24, v62, v26
	v_mul_lo_u16 v26, v86, 60
	v_mul_u32_u24_e32 v22, 0x8889, v22
	s_clause 0x2
	global_load_b64 v[92:93], v23, s[8:9] offset:400
	global_load_b64 v[94:95], v25, s[8:9] offset:400
	;; [unrolled: 1-line block ×3, first 2 shown]
	v_mul_lo_u16 v23, v88, 60
	v_and_b32_e32 v25, 0xffff, v47
	v_and_b32_e32 v91, 0xffff, v24
	v_sub_nc_u16 v24, v60, v26
	v_lshrrev_b32_e32 v90, 21, v22
	v_sub_nc_u16 v28, v58, v23
	v_mul_u32_u24_e32 v23, 0x8889, v25
	v_and_b32_e32 v25, 0xffff, v50
	v_and_b32_e32 v137, 0xffff, v24
	v_mul_lo_u16 v24, v90, 60
	v_and_b32_e32 v29, 0xffff, v48
	v_lshrrev_b32_e32 v138, 21, v23
	v_mul_u32_u24_e32 v27, 0x8889, v25
	v_and_b32_e32 v139, 0xffff, v28
	v_sub_nc_u16 v98, v46, v24
	v_mul_u32_u24_e32 v24, 0x8889, v29
	v_mul_lo_u16 v25, v138, 60
	v_lshrrev_b32_e32 v141, 21, v27
	v_lshlrev_b32_e32 v26, 3, v91
	v_and_b32_e32 v140, 0xffff, v98
	v_lshrrev_b32_e32 v142, 21, v24
	v_sub_nc_u16 v113, v47, v25
	v_and_b32_e32 v25, 0xffff, v51
	v_mul_lo_u16 v114, v141, 60
	v_lshlrev_b32_e32 v107, 3, v137
	v_mul_lo_u16 v115, v142, 60
	v_lshlrev_b32_e32 v28, 3, v139
	v_mul_u32_u24_e32 v25, 0x8889, v25
	v_lshlrev_b32_e32 v29, 3, v140
	s_clause 0x3
	global_load_b64 v[98:99], v26, s[8:9] offset:400
	global_load_b64 v[107:108], v107, s[8:9] offset:400
	;; [unrolled: 1-line block ×4, first 2 shown]
	v_sub_nc_u16 v26, v50, v114
	v_sub_nc_u16 v28, v48, v115
	v_and_b32_e32 v29, 0xffff, v53
	v_lshrrev_b32_e32 v144, 21, v25
	v_and_b32_e32 v114, 0xffff, v57
	v_and_b32_e32 v145, 0xffff, v26
	;; [unrolled: 1-line block ×3, first 2 shown]
	v_mul_u32_u24_e32 v26, 0x8889, v29
	v_mul_lo_u16 v28, v144, 60
	v_and_b32_e32 v29, 0xffff, v55
	v_mul_lo_u16 v54, 0x89, v54
	v_and_b32_e32 v143, 0xffff, v113
	v_lshrrev_b32_e32 v147, 21, v26
	v_sub_nc_u16 v28, v51, v28
	v_mul_u32_u24_e32 v29, 0x8889, v29
	v_lshrrev_b16 v54, 13, v54
	v_lshlrev_b32_e32 v113, 3, v143
	v_mul_lo_u16 v116, v147, 60
	v_and_b32_e32 v148, 0xffff, v28
	v_lshrrev_b32_e32 v149, 21, v29
	v_mul_u32_u24_e32 v28, 0x8889, v114
	v_mul_lo_u16 v120, v54, 60
	v_sub_nc_u16 v118, v53, v116
	v_lshlrev_b32_e32 v115, 3, v145
	v_mul_lo_u16 v119, v149, 60
	v_lshrrev_b32_e32 v150, 21, v28
	v_sub_nc_u16 v122, v0, v120
	v_lshlrev_b32_e32 v117, 3, v146
	s_clause 0x1
	global_load_b64 v[113:114], v113, s[8:9] offset:400
	global_load_b64 v[115:116], v115, s[8:9] offset:400
	v_sub_nc_u16 v119, v55, v119
	v_mul_lo_u16 v123, v150, 60
	v_lshlrev_b32_e32 v121, 3, v148
	v_and_b32_e32 v151, 0xffff, v118
	global_load_b64 v[117:118], v117, s[8:9] offset:400
	v_and_b32_e32 v152, 0xffff, v119
	v_sub_nc_u16 v123, v57, v123
	v_and_b32_e32 v153, 0xff, v122
	global_load_b64 v[119:120], v121, s[8:9] offset:400
	v_lshlrev_b32_e32 v121, 3, v151
	v_lshlrev_b32_e32 v124, 3, v152
	v_and_b32_e32 v154, 0xffff, v123
	v_lshlrev_b32_e32 v125, 3, v153
	v_lshrrev_b32_e32 v72, 22, v72
	s_clause 0x2
	global_load_b64 v[121:122], v121, s[8:9] offset:400
	global_load_b64 v[123:124], v124, s[8:9] offset:400
	;; [unrolled: 1-line block ×3, first 2 shown]
	v_lshlrev_b32_e32 v127, 3, v154
	v_lshrrev_b16 v70, 14, v70
	global_load_b64 v[127:128], v127, s[8:9] offset:400
	ds_load_2addr_stride64_b32 v[129:130], v102 offset0:32 offset1:34
	ds_load_2addr_stride64_b32 v[131:132], v102 offset0:36 offset1:38
	;; [unrolled: 1-line block ×4, first 2 shown]
	s_wait_loadcnt_dscnt 0xe03
	v_mul_f32_e32 v155, v129, v93
	s_wait_loadcnt 0xd
	v_dual_mul_f32 v156, v16, v93 :: v_dual_mul_f32 v93, v130, v95
	v_mul_f32_e32 v95, v17, v95
	s_delay_alu instid0(VALU_DEP_3)
	v_fma_f32 v155, v16, v92, -v155
	s_wait_loadcnt_dscnt 0xc02
	v_mul_f32_e32 v16, v131, v97
	v_fmac_f32_e32 v156, v129, v92
	v_fma_f32 v129, v17, v94, -v93
	v_fmac_f32_e32 v95, v130, v94
	v_mul_f32_e32 v94, v14, v97
	v_fma_f32 v97, v14, v96, -v16
	ds_load_2addr_stride64_b32 v[16:17], v102 offset0:48 offset1:50
	v_fmac_f32_e32 v94, v131, v96
	s_wait_loadcnt 0xb
	v_mul_f32_e32 v14, v132, v99
	s_wait_loadcnt_dscnt 0xa02
	v_dual_mul_f32 v99, v15, v99 :: v_dual_mul_f32 v92, v133, v108
	s_wait_loadcnt 0x9
	v_mul_f32_e32 v93, v134, v110
	v_fma_f32 v96, v15, v98, -v14
	s_delay_alu instid0(VALU_DEP_3)
	v_fmac_f32_e32 v99, v132, v98
	v_mul_f32_e32 v98, v12, v108
	v_mul_f32_e32 v108, v13, v110
	ds_load_2addr_stride64_b32 v[14:15], v102 offset0:52 offset1:54
	v_fma_f32 v110, v12, v107, -v92
	s_wait_loadcnt_dscnt 0x802
	v_mul_f32_e32 v12, v135, v112
	v_fmac_f32_e32 v98, v133, v107
	v_fma_f32 v107, v13, v109, -v93
	ds_load_2addr_stride64_b32 v[92:93], v102 offset1:30
	v_fmac_f32_e32 v108, v134, v109
	v_mul_f32_e32 v109, v10, v112
	v_fma_f32 v10, v10, v111, -v12
	ds_load_2addr_stride64_b32 v[12:13], v102 offset0:56 offset1:58
	v_lshrrev_b32_e32 v133, 22, v23
	v_dual_fmac_f32 v109, v135, v111 :: v_dual_sub_f32 v10, v74, v10
	s_wait_loadcnt 0x7
	v_mul_f32_e32 v112, v136, v114
	v_mul_f32_e32 v114, v11, v114
	s_wait_loadcnt_dscnt 0x603
	v_mul_f32_e32 v130, v16, v116
	v_mul_f32_e32 v111, v8, v116
	v_fma_f32 v11, v11, v113, -v112
	v_fmac_f32_e32 v114, v136, v113
	s_wait_loadcnt 0x5
	v_mul_f32_e32 v112, v17, v118
	v_mul_f32_e32 v113, v9, v118
	v_fma_f32 v8, v8, v115, -v130
	s_wait_loadcnt 0x4
	v_mul_f32_e32 v118, v6, v120
	s_wait_dscnt 0x2
	v_dual_mul_f32 v116, v14, v120 :: v_dual_fmac_f32 v111, v16, v115
	v_fmac_f32_e32 v113, v17, v117
	v_fma_f32 v9, v9, v117, -v112
	v_fmac_f32_e32 v118, v14, v119
	s_wait_loadcnt 0x2
	v_dual_mul_f32 v14, v15, v122 :: v_dual_mul_f32 v115, v4, v124
	s_wait_loadcnt_dscnt 0x101
	v_mul_f32_e32 v17, v93, v126
	v_fma_f32 v6, v6, v119, -v116
	v_mul_f32_e32 v112, v7, v122
	s_wait_dscnt 0x0
	v_mul_f32_e32 v16, v12, v124
	v_fma_f32 v7, v7, v121, -v14
	v_fmac_f32_e32 v115, v12, v123
	v_fma_f32 v12, v3, v125, -v17
	v_and_b32_e32 v14, 0xffff, v54
	s_wait_loadcnt 0x0
	v_mul_f32_e32 v116, v5, v128
	v_fmac_f32_e32 v112, v15, v121
	v_fma_f32 v4, v4, v123, -v16
	v_mul_f32_e32 v15, v13, v128
	v_dual_mul_f32 v3, v3, v126 :: v_dual_sub_f32 v12, v2, v12
	v_mul_u32_u24_e32 v14, 0x1e0, v14
	v_lshlrev_b32_e32 v16, 2, v153
	v_dual_fmac_f32 v116, v13, v127 :: v_dual_and_b32 v13, 0xffff, v81
	s_delay_alu instid0(VALU_DEP_4) | instskip(SKIP_1) | instid1(VALU_DEP_4)
	v_fmac_f32_e32 v3, v93, v125
	v_fma_f32 v2, v2, 2.0, -v12
	v_add3_u32 v93, 0, v14, v16
	v_lshlrev_b32_e32 v14, 2, v83
	v_mul_u32_u24_e32 v13, 0x1e0, v13
	v_mul_u32_u24_e32 v16, 0x1e0, v82
	v_lshlrev_b32_e32 v17, 2, v87
	v_fma_f32 v5, v5, v127, -v15
	v_sub_f32_e32 v15, v80, v155
	ds_load_b32 v117, v103
	ds_load_b32 v119, v34
	;; [unrolled: 1-line block ×14, first 2 shown]
	global_wb scope:SCOPE_SE
	s_wait_dscnt 0x0
	s_barrier_signal -1
	s_barrier_wait -1
	global_inv scope:SCOPE_SE
	ds_store_2addr_b32 v93, v2, v12 offset1:60
	v_add3_u32 v2, 0, v13, v14
	v_sub_f32_e32 v13, v79, v129
	v_add3_u32 v82, 0, v16, v17
	v_mul_u32_u24_e32 v14, 0x1e0, v84
	v_lshlrev_b32_e32 v16, 2, v89
	v_sub_f32_e32 v17, v78, v97
	v_fma_f32 v12, v80, 2.0, -v15
	v_mul_u32_u24_e32 v54, 0x1e0, v85
	v_dual_sub_f32 v81, v77, v96 :: v_dual_lshlrev_b32 v80, 2, v91
	v_fma_f32 v79, v79, 2.0, -v13
	v_add3_u32 v83, 0, v14, v16
	v_fma_f32 v14, v78, 2.0, -v17
	s_delay_alu instid0(VALU_DEP_4)
	v_add3_u32 v84, 0, v54, v80
	v_fma_f32 v16, v77, 2.0, -v81
	v_mul_u32_u24_e32 v54, 0x1e0, v86
	v_lshlrev_b32_e32 v77, 2, v137
	ds_store_2addr_b32 v2, v12, v15 offset1:60
	ds_store_2addr_b32 v82, v79, v13 offset1:60
	;; [unrolled: 1-line block ×4, first 2 shown]
	v_sub_f32_e32 v12, v75, v110
	v_mul_u32_u24_e32 v16, 0x1e0, v90
	v_lshlrev_b32_e32 v17, 2, v140
	v_mul_u32_u24_e32 v13, 0x1e0, v88
	v_lshlrev_b32_e32 v14, 2, v139
	v_sub_f32_e32 v15, v76, v107
	v_add3_u32 v85, 0, v54, v77
	v_fma_f32 v54, v75, 2.0, -v12
	v_add3_u32 v87, 0, v16, v17
	v_mul_u32_u24_e32 v16, 0x1e0, v138
	v_lshlrev_b32_e32 v17, 2, v143
	v_sub_f32_e32 v11, v73, v11
	v_add3_u32 v86, 0, v13, v14
	v_fma_f32 v13, v76, 2.0, -v15
	v_fma_f32 v14, v74, 2.0, -v10
	ds_store_2addr_b32 v85, v54, v12 offset1:60
	ds_store_2addr_b32 v86, v13, v15 offset1:60
	;; [unrolled: 1-line block ×3, first 2 shown]
	v_add3_u32 v88, 0, v16, v17
	v_fma_f32 v10, v73, 2.0, -v11
	v_mul_u32_u24_e32 v12, 0x1e0, v141
	v_dual_sub_f32 v8, v21, v8 :: v_dual_lshlrev_b32 v13, 2, v145
	v_mul_u32_u24_e32 v14, 0x1e0, v142
	v_lshlrev_b32_e32 v15, 2, v146
	v_sub_f32_e32 v9, v71, v9
	ds_store_2addr_b32 v88, v10, v11 offset1:60
	v_add3_u32 v89, 0, v12, v13
	v_fma_f32 v10, v21, 2.0, -v8
	v_add3_u32 v90, 0, v14, v15
	v_fma_f32 v11, v71, 2.0, -v9
	v_mul_u32_u24_e32 v12, 0x1e0, v144
	v_dual_sub_f32 v6, v56, v6 :: v_dual_lshlrev_b32 v13, 2, v148
	v_dual_sub_f32 v3, v92, v3 :: v_dual_sub_f32 v110, v131, v156
	v_mul_u32_u24_e32 v14, 0x1e0, v147
	v_lshlrev_b32_e32 v15, 2, v151
	v_sub_f32_e32 v7, v19, v7
	ds_store_2addr_b32 v89, v10, v8 offset1:60
	ds_store_2addr_b32 v90, v11, v9 offset1:60
	v_mul_u32_u24_e32 v9, 0x1e0, v149
	v_lshlrev_b32_e32 v10, 2, v152
	v_sub_f32_e32 v4, v18, v4
	v_add3_u32 v91, 0, v12, v13
	v_mul_u32_u24_e32 v11, 0x1e0, v150
	v_dual_sub_f32 v5, v20, v5 :: v_dual_lshlrev_b32 v12, 2, v154
	v_fma_f32 v8, v56, 2.0, -v6
	v_fma_f32 v92, v92, 2.0, -v3
	v_sub_f32_e32 v95, v130, v95
	v_fma_f32 v129, v131, 2.0, -v110
	v_add3_u32 v96, 0, v14, v15
	v_fma_f32 v13, v19, 2.0, -v7
	v_add3_u32 v97, 0, v9, v10
	;; [unrolled: 2-line block ×3, first 2 shown]
	v_fma_f32 v10, v20, 2.0, -v5
	ds_store_2addr_b32 v91, v8, v6 offset1:60
	ds_store_2addr_b32 v96, v13, v7 offset1:60
	;; [unrolled: 1-line block ×4, first 2 shown]
	global_wb scope:SCOPE_SE
	s_wait_dscnt 0x0
	s_barrier_signal -1
	s_barrier_wait -1
	global_inv scope:SCOPE_SE
	ds_load_b32 v75, v103
	ds_load_b32 v77, v34
	;; [unrolled: 1-line block ×14, first 2 shown]
	ds_load_2addr_stride64_b32 v[4:5], v102 offset1:30
	ds_load_2addr_stride64_b32 v[18:19], v102 offset0:32 offset1:34
	ds_load_2addr_stride64_b32 v[16:17], v102 offset0:36 offset1:38
	;; [unrolled: 1-line block ×7, first 2 shown]
	global_wb scope:SCOPE_SE
	s_wait_dscnt 0x0
	s_barrier_signal -1
	s_barrier_wait -1
	global_inv scope:SCOPE_SE
	ds_store_2addr_b32 v93, v92, v3 offset1:60
	v_fma_f32 v3, v130, 2.0, -v95
	ds_store_2addr_b32 v2, v129, v110 offset1:60
	v_sub_f32_e32 v2, v124, v94
	v_dual_sub_f32 v92, v123, v99 :: v_dual_sub_f32 v93, v117, v98
	ds_store_2addr_b32 v82, v3, v95 offset1:60
	v_sub_f32_e32 v3, v119, v108
	v_fma_f32 v82, v124, 2.0, -v2
	v_sub_f32_e32 v98, v120, v109
	v_fma_f32 v94, v123, 2.0, -v92
	v_fma_f32 v95, v117, 2.0, -v93
	;; [unrolled: 1-line block ×3, first 2 shown]
	ds_store_2addr_b32 v83, v82, v2 offset1:60
	ds_store_2addr_b32 v84, v94, v92 offset1:60
	;; [unrolled: 1-line block ×3, first 2 shown]
	v_fma_f32 v2, v120, 2.0, -v98
	v_sub_f32_e32 v82, v122, v111
	ds_store_2addr_b32 v86, v99, v3 offset1:60
	v_sub_f32_e32 v3, v121, v114
	v_sub_f32_e32 v83, v125, v113
	ds_store_2addr_b32 v87, v2, v98 offset1:60
	v_sub_f32_e32 v2, v126, v118
	v_fma_f32 v85, v122, 2.0, -v82
	v_fma_f32 v84, v121, 2.0, -v3
	;; [unrolled: 1-line block ×3, first 2 shown]
	v_sub_f32_e32 v87, v127, v112
	v_fma_f32 v92, v126, 2.0, -v2
	ds_store_2addr_b32 v88, v84, v3 offset1:60
	ds_store_2addr_b32 v89, v85, v82 offset1:60
	;; [unrolled: 1-line block ×3, first 2 shown]
	v_sub_f32_e32 v83, v132, v116
	v_fma_f32 v3, v127, 2.0, -v87
	ds_store_2addr_b32 v91, v92, v2 offset1:60
	v_sub_f32_e32 v2, v128, v115
	v_lshrrev_b32_e32 v82, 22, v31
	v_fma_f32 v85, v132, 2.0, -v83
	v_mul_lo_u16 v86, 0x78, v72
	ds_store_2addr_b32 v96, v3, v87 offset1:60
	v_fma_f32 v84, v128, 2.0, -v2
	v_mul_lo_u16 v3, 0x78, v70
	ds_store_2addr_b32 v97, v84, v2 offset1:60
	ds_store_2addr_b32 v107, v85, v83 offset1:60
	v_mul_lo_u16 v2, 0x78, v82
	v_sub_nc_u16 v85, v44, v86
	v_sub_nc_u16 v3, v42, v3
	v_lshrrev_b32_e32 v84, 22, v32
	v_lshrrev_b32_e32 v131, 22, v30
	v_sub_nc_u16 v2, v64, v2
	v_and_b32_e32 v87, 0xffff, v85
	v_lshrrev_b32_e32 v85, 22, v33
	v_and_b32_e32 v83, 0xff, v3
	v_mul_lo_u16 v88, 0x78, v84
	v_lshrrev_b32_e32 v132, 22, v22
	v_and_b32_e32 v86, 0xffff, v2
	v_mul_lo_u16 v89, 0x78, v85
	v_lshlrev_b32_e32 v3, 3, v83
	v_sub_nc_u16 v88, v62, v88
	v_mul_lo_u16 v95, 0x78, v131
	v_lshlrev_b32_e32 v2, 3, v87
	v_mul_lo_u16 v96, 0x78, v132
	v_lshlrev_b32_e32 v92, 3, v86
	v_sub_nc_u16 v94, v60, v89
	global_wb scope:SCOPE_SE
	s_wait_dscnt 0x0
	s_barrier_signal -1
	s_barrier_wait -1
	global_inv scope:SCOPE_SE
	v_and_b32_e32 v134, 0xffff, v88
	s_clause 0x2
	global_load_b64 v[88:89], v3, s[8:9] offset:880
	global_load_b64 v[90:91], v2, s[8:9] offset:880
	global_load_b64 v[92:93], v92, s[8:9] offset:880
	v_sub_nc_u16 v2, v58, v95
	v_sub_nc_u16 v3, v46, v96
	v_mul_lo_u16 v97, 0x78, v133
	v_lshrrev_b32_e32 v139, 22, v27
	v_and_b32_e32 v135, 0xffff, v94
	v_and_b32_e32 v136, 0xffff, v2
	;; [unrolled: 1-line block ×3, first 2 shown]
	v_sub_nc_u16 v94, v47, v97
	v_lshlrev_b32_e32 v95, 3, v134
	v_mul_lo_u16 v110, 0x78, v139
	v_lshrrev_b32_e32 v141, 22, v25
	v_lshlrev_b32_e32 v96, 3, v135
	v_lshlrev_b32_e32 v2, 3, v136
	;; [unrolled: 1-line block ×3, first 2 shown]
	v_and_b32_e32 v138, 0xffff, v94
	s_clause 0x3
	global_load_b64 v[94:95], v95, s[8:9] offset:880
	global_load_b64 v[96:97], v96, s[8:9] offset:880
	global_load_b64 v[98:99], v2, s[8:9] offset:880
	global_load_b64 v[107:108], v3, s[8:9] offset:880
	v_sub_nc_u16 v2, v50, v110
	v_mul_lo_u16 v3, 0x78, v141
	v_lshrrev_b32_e32 v142, 22, v26
	v_lshrrev_b32_e32 v140, 22, v24
	;; [unrolled: 1-line block ×3, first 2 shown]
	v_and_b32_e32 v143, 0xffff, v2
	v_sub_nc_u16 v2, v51, v3
	v_mul_lo_u16 v3, 0x78, v142
	v_mul_lo_u16 v111, 0x78, v140
	v_lshrrev_b32_e32 v147, 22, v28
	v_lshlrev_b32_e32 v109, 3, v138
	v_and_b32_e32 v146, 0xffff, v2
	v_mul_lo_u16 v2, 0x78, v144
	v_sub_nc_u16 v113, v53, v3
	v_add_nc_u32_e32 v3, 0xffffff88, v0
	v_sub_nc_u16 v111, v48, v111
	v_mul_lo_u16 v119, 0x78, v147
	v_sub_nc_u16 v114, v55, v2
	v_and_b32_e32 v148, 0xffff, v113
	v_cndmask_b32_e64 v2, v3, v0, s0
	v_mov_b32_e32 v3, 0
	v_and_b32_e32 v145, 0xffff, v111
	v_lshlrev_b32_e32 v111, 3, v143
	v_and_b32_e32 v149, 0xffff, v114
	global_load_b64 v[109:110], v109, s[8:9] offset:880
	v_lshlrev_b64_e32 v[113:114], 3, v[2:3]
	v_lshlrev_b32_e32 v115, 3, v145
	global_load_b64 v[111:112], v111, s[8:9] offset:880
	v_sub_nc_u16 v119, v57, v119
	v_lshlrev_b32_e32 v117, 3, v146
	s_clause 0x1
	global_load_b64 v[115:116], v115, s[8:9] offset:880
	global_load_b64 v[117:118], v117, s[8:9] offset:880
	v_lshlrev_b32_e32 v120, 3, v148
	v_add_co_u32 v113, s0, s8, v113
	v_and_b32_e32 v150, 0xffff, v119
	v_lshlrev_b32_e32 v121, 3, v149
	s_wait_alu 0xf1ff
	v_add_co_ci_u32_e64 v114, s0, s9, v114, s0
	s_clause 0x2
	global_load_b64 v[119:120], v120, s[8:9] offset:880
	global_load_b64 v[121:122], v121, s[8:9] offset:880
	global_load_b64 v[113:114], v[113:114], off offset:880
	v_lshlrev_b32_e32 v123, 3, v150
	v_cmp_lt_u32_e64 s0, 0x77, v0
	v_lshlrev_b32_e32 v2, 2, v2
	v_lshrrev_b32_e32 v31, 23, v31
	v_lshrrev_b32_e32 v32, 23, v32
	global_load_b64 v[123:124], v123, s[8:9] offset:880
	ds_load_2addr_stride64_b32 v[125:126], v102 offset0:32 offset1:34
	ds_load_2addr_stride64_b32 v[127:128], v102 offset0:36 offset1:38
	;; [unrolled: 1-line block ×3, first 2 shown]
	v_lshrrev_b32_e32 v30, 23, v30
	v_mul_lo_u16 v32, 0xf0, v32
	s_wait_loadcnt_dscnt 0xe02
	v_mul_f32_e32 v151, v125, v89
	v_mul_f32_e32 v152, v18, v89
	s_wait_loadcnt 0xd
	v_mul_f32_e32 v89, v126, v91
	v_mul_f32_e32 v153, v19, v91
	v_fma_f32 v151, v18, v88, -v151
	v_fmac_f32_e32 v152, v125, v88
	s_delay_alu instid0(VALU_DEP_4) | instskip(SKIP_4) | instid1(VALU_DEP_2)
	v_fma_f32 v125, v19, v90, -v89
	ds_load_2addr_stride64_b32 v[18:19], v102 offset0:44 offset1:46
	s_wait_loadcnt_dscnt 0xc02
	v_dual_mul_f32 v88, v127, v93 :: v_dual_fmac_f32 v153, v126, v90
	v_mul_f32_e32 v93, v16, v93
	v_fma_f32 v126, v16, v92, -v88
	s_wait_loadcnt 0xb
	v_mul_f32_e32 v90, v128, v95
	v_mul_f32_e32 v95, v17, v95
	ds_load_2addr_stride64_b32 v[88:89], v102 offset0:48 offset1:50
	v_fmac_f32_e32 v93, v127, v92
	s_wait_loadcnt_dscnt 0x902
	v_mul_f32_e32 v91, v130, v99
	v_fma_f32 v92, v17, v94, -v90
	v_dual_fmac_f32 v95, v128, v94 :: v_dual_mul_f32 v90, v129, v97
	v_mul_f32_e32 v94, v14, v97
	ds_load_2addr_stride64_b32 v[16:17], v102 offset0:52 offset1:54
	v_mul_f32_e32 v97, v15, v99
	v_fma_f32 v99, v14, v96, -v90
	v_fmac_f32_e32 v94, v129, v96
	v_fma_f32 v96, v15, v98, -v91
	ds_load_2addr_stride64_b32 v[14:15], v102 offset0:56 offset1:58
	ds_load_2addr_stride64_b32 v[90:91], v102 offset1:30
	v_fmac_f32_e32 v97, v130, v98
	s_wait_loadcnt_dscnt 0x804
	v_mul_f32_e32 v98, v18, v108
	v_mul_f32_e32 v108, v12, v108
	s_delay_alu instid0(VALU_DEP_2) | instskip(NEXT) | instid1(VALU_DEP_2)
	v_fma_f32 v12, v12, v107, -v98
	v_fmac_f32_e32 v108, v18, v107
	s_wait_loadcnt 0x7
	s_delay_alu instid0(VALU_DEP_2)
	v_dual_sub_f32 v12, v76, v12 :: v_dual_mul_f32 v127, v19, v110
	v_mul_f32_e32 v110, v13, v110
	s_wait_loadcnt_dscnt 0x603
	v_mul_f32_e32 v98, v88, v112
	v_mul_f32_e32 v107, v10, v112
	v_fma_f32 v13, v13, v109, -v127
	v_fmac_f32_e32 v110, v19, v109
	s_delay_alu instid0(VALU_DEP_4) | instskip(SKIP_4) | instid1(VALU_DEP_3)
	v_fma_f32 v10, v10, v111, -v98
	s_wait_loadcnt_dscnt 0x402
	v_dual_mul_f32 v98, v11, v116 :: v_dual_mul_f32 v19, v16, v118
	v_dual_mul_f32 v109, v8, v118 :: v_dual_mul_f32 v18, v89, v116
	v_fmac_f32_e32 v107, v88, v111
	v_fmac_f32_e32 v98, v89, v115
	s_delay_alu instid0(VALU_DEP_4)
	v_fma_f32 v8, v8, v117, -v19
	s_wait_loadcnt 0x3
	v_dual_fmac_f32 v109, v16, v117 :: v_dual_mul_f32 v16, v17, v120
	s_wait_loadcnt_dscnt 0x100
	v_mul_f32_e32 v19, v91, v114
	v_mul_f32_e32 v89, v6, v122
	v_fma_f32 v11, v11, v115, -v18
	v_mul_f32_e32 v88, v9, v120
	v_mul_f32_e32 v18, v14, v122
	v_fma_f32 v9, v9, v119, -v16
	v_fma_f32 v16, v5, v113, -v19
	s_wait_loadcnt 0x0
	v_dual_fmac_f32 v89, v14, v121 :: v_dual_mul_f32 v14, v15, v124
	v_dual_fmac_f32 v88, v17, v119 :: v_dual_mul_f32 v111, v7, v124
	s_delay_alu instid0(VALU_DEP_3)
	v_sub_f32_e32 v16, v4, v16
	s_wait_alu 0xf1ff
	v_cndmask_b32_e64 v17, 0, 0x3c0, s0
	v_fma_f32 v7, v7, v123, -v14
	v_and_b32_e32 v14, 0xffff, v70
	v_mul_f32_e32 v5, v5, v114
	v_fmac_f32_e32 v111, v15, v123
	v_fma_f32 v4, v4, 2.0, -v16
	v_add3_u32 v2, 0, v17, v2
	v_mul_u32_u24_e32 v14, 0x3c0, v14
	v_lshlrev_b32_e32 v15, 2, v83
	v_fma_f32 v6, v6, v121, -v18
	v_mul_u32_u24_e32 v18, 0x3c0, v72
	v_lshlrev_b32_e32 v19, 2, v87
	v_sub_f32_e32 v17, v81, v151
	v_fmac_f32_e32 v5, v91, v113
	ds_load_b32 v91, v103
	ds_load_b32 v112, v34
	;; [unrolled: 1-line block ×14, first 2 shown]
	global_wb scope:SCOPE_SE
	s_wait_dscnt 0x0
	s_barrier_signal -1
	s_barrier_wait -1
	global_inv scope:SCOPE_SE
	ds_store_2addr_b32 v2, v4, v16 offset1:120
	v_add3_u32 v4, 0, v14, v15
	v_sub_f32_e32 v15, v80, v125
	v_add3_u32 v83, 0, v18, v19
	v_mul_u32_u24_e32 v16, 0x3c0, v82
	v_lshlrev_b32_e32 v18, 2, v86
	v_sub_f32_e32 v19, v79, v126
	v_fma_f32 v14, v81, 2.0, -v17
	v_mul_u32_u24_e32 v70, 0x3c0, v84
	v_dual_sub_f32 v81, v78, v92 :: v_dual_lshlrev_b32 v72, 2, v134
	v_fma_f32 v80, v80, 2.0, -v15
	v_add3_u32 v82, 0, v16, v18
	v_fma_f32 v16, v79, 2.0, -v19
	s_delay_alu instid0(VALU_DEP_4)
	v_add3_u32 v84, 0, v70, v72
	v_fma_f32 v18, v78, 2.0, -v81
	v_mul_u32_u24_e32 v70, 0x3c0, v85
	v_lshlrev_b32_e32 v72, 2, v135
	ds_store_2addr_b32 v4, v14, v17 offset1:120
	ds_store_2addr_b32 v83, v80, v15 offset1:120
	;; [unrolled: 1-line block ×4, first 2 shown]
	v_sub_f32_e32 v14, v75, v99
	v_mul_u32_u24_e32 v18, 0x3c0, v132
	v_lshlrev_b32_e32 v19, 2, v137
	v_mul_u32_u24_e32 v15, 0x3c0, v131
	v_lshlrev_b32_e32 v16, 2, v136
	v_sub_f32_e32 v17, v77, v96
	v_add3_u32 v85, 0, v70, v72
	v_fma_f32 v70, v75, 2.0, -v14
	v_add3_u32 v87, 0, v18, v19
	v_mul_u32_u24_e32 v18, 0x3c0, v133
	v_lshlrev_b32_e32 v19, 2, v138
	v_sub_f32_e32 v13, v74, v13
	v_add3_u32 v86, 0, v15, v16
	v_fma_f32 v15, v77, 2.0, -v17
	v_fma_f32 v16, v76, 2.0, -v12
	ds_store_2addr_b32 v85, v70, v14 offset1:120
	ds_store_2addr_b32 v86, v15, v17 offset1:120
	;; [unrolled: 1-line block ×3, first 2 shown]
	v_add3_u32 v92, 0, v18, v19
	v_fma_f32 v12, v74, 2.0, -v13
	v_mul_u32_u24_e32 v14, 0x3c0, v139
	v_dual_sub_f32 v10, v71, v10 :: v_dual_lshlrev_b32 v15, 2, v143
	v_mul_u32_u24_e32 v16, 0x3c0, v140
	v_lshlrev_b32_e32 v17, 2, v145
	v_sub_f32_e32 v11, v73, v11
	ds_store_2addr_b32 v92, v12, v13 offset1:120
	v_add3_u32 v96, 0, v14, v15
	v_fma_f32 v12, v71, 2.0, -v10
	v_add3_u32 v99, 0, v16, v17
	v_fma_f32 v13, v73, 2.0, -v11
	v_mul_u32_u24_e32 v14, 0x3c0, v141
	v_dual_sub_f32 v8, v56, v8 :: v_dual_lshlrev_b32 v15, 2, v146
	v_sub_f32_e32 v5, v90, v5
	v_mul_u32_u24_e32 v16, 0x3c0, v142
	v_lshlrev_b32_e32 v17, 2, v148
	v_sub_f32_e32 v9, v21, v9
	ds_store_2addr_b32 v96, v12, v10 offset1:120
	ds_store_2addr_b32 v99, v13, v11 offset1:120
	v_mul_u32_u24_e32 v11, 0x3c0, v144
	v_lshlrev_b32_e32 v12, 2, v149
	v_sub_f32_e32 v6, v20, v6
	v_add3_u32 v125, 0, v14, v15
	v_mul_u32_u24_e32 v13, 0x3c0, v147
	v_dual_sub_f32 v7, v54, v7 :: v_dual_lshlrev_b32 v14, 2, v150
	v_fma_f32 v10, v56, 2.0, -v8
	v_fma_f32 v90, v90, 2.0, -v5
	v_sub_f32_e32 v129, v123, v152
	v_add3_u32 v126, 0, v16, v17
	v_fma_f32 v15, v21, 2.0, -v9
	v_add3_u32 v127, 0, v11, v12
	v_fma_f32 v11, v20, 2.0, -v6
	;; [unrolled: 2-line block ×3, first 2 shown]
	ds_store_2addr_b32 v125, v10, v8 offset1:120
	ds_store_2addr_b32 v126, v15, v9 offset1:120
	;; [unrolled: 1-line block ×4, first 2 shown]
	global_wb scope:SCOPE_SE
	s_wait_dscnt 0x0
	s_barrier_signal -1
	s_barrier_wait -1
	global_inv scope:SCOPE_SE
	ds_load_b32 v75, v103
	ds_load_b32 v77, v34
	;; [unrolled: 1-line block ×14, first 2 shown]
	ds_load_2addr_stride64_b32 v[6:7], v102 offset1:30
	ds_load_2addr_stride64_b32 v[20:21], v102 offset0:32 offset1:34
	ds_load_2addr_stride64_b32 v[18:19], v102 offset0:36 offset1:38
	;; [unrolled: 1-line block ×7, first 2 shown]
	global_wb scope:SCOPE_SE
	s_wait_dscnt 0x0
	s_barrier_signal -1
	s_barrier_wait -1
	global_inv scope:SCOPE_SE
	ds_store_2addr_b32 v2, v90, v5 offset1:120
	v_fma_f32 v2, v123, 2.0, -v129
	v_sub_f32_e32 v5, v122, v153
	v_dual_sub_f32 v90, v117, v93 :: v_dual_sub_f32 v93, v116, v95
	v_sub_f32_e32 v94, v91, v94
	ds_store_2addr_b32 v4, v2, v129 offset1:120
	v_fma_f32 v2, v122, 2.0, -v5
	v_sub_f32_e32 v97, v112, v97
	v_fma_f32 v4, v117, 2.0, -v90
	v_fma_f32 v95, v116, 2.0, -v93
	;; [unrolled: 1-line block ×3, first 2 shown]
	ds_store_2addr_b32 v83, v2, v5 offset1:120
	ds_store_2addr_b32 v82, v4, v90 offset1:120
	;; [unrolled: 1-line block ×4, first 2 shown]
	v_fma_f32 v2, v112, 2.0, -v97
	v_dual_sub_f32 v4, v113, v108 :: v_dual_sub_f32 v5, v114, v110
	v_dual_sub_f32 v82, v115, v107 :: v_dual_sub_f32 v83, v118, v98
	ds_store_2addr_b32 v86, v2, v97 offset1:120
	v_fma_f32 v2, v113, 2.0, -v4
	v_sub_f32_e32 v90, v119, v109
	v_fma_f32 v84, v114, 2.0, -v5
	v_fma_f32 v85, v115, 2.0, -v82
	;; [unrolled: 1-line block ×3, first 2 shown]
	ds_store_2addr_b32 v87, v2, v4 offset1:120
	ds_store_2addr_b32 v92, v84, v5 offset1:120
	;; [unrolled: 1-line block ×4, first 2 shown]
	v_fma_f32 v2, v119, 2.0, -v90
	v_add_nc_u32_e32 v4, 0xffffff90, v0
	v_cmp_gt_u32_e64 s0, 0xf0, v42
	v_dual_sub_f32 v84, v120, v88 :: v_dual_sub_f32 v85, v121, v89
	ds_store_2addr_b32 v125, v2, v90 offset1:120
	v_lshrrev_b32_e32 v125, 23, v33
	s_wait_alu 0xf1ff
	v_cndmask_b32_e64 v2, v4, v42, s0
	v_lshlrev_b64_e32 v[4:5], 3, v[0:1]
	v_mul_lo_u16 v1, 0xf0, v31
	v_sub_f32_e32 v86, v124, v111
	v_fma_f32 v87, v120, 2.0, -v84
	v_mul_lo_u16 v33, 0xf0, v125
	v_fma_f32 v88, v121, 2.0, -v85
	v_sub_nc_u16 v1, v64, v1
	v_fma_f32 v89, v124, 2.0, -v86
	v_lshlrev_b64_e32 v[82:83], 3, v[2:3]
	ds_store_2addr_b32 v126, v87, v84 offset1:120
	ds_store_2addr_b32 v127, v88, v85 offset1:120
	;; [unrolled: 1-line block ×3, first 2 shown]
	v_and_b32_e32 v126, 0xffff, v1
	v_sub_nc_u16 v1, v62, v32
	v_sub_nc_u16 v84, v60, v33
	v_add_co_u32 v82, s0, s8, v82
	v_lshrrev_b32_e32 v128, 23, v22
	s_delay_alu instid0(VALU_DEP_4)
	v_and_b32_e32 v127, 0xffff, v1
	v_mul_lo_u16 v1, 0xf0, v30
	v_and_b32_e32 v30, 0xffff, v84
	v_lshrrev_b32_e32 v84, 23, v23
	s_wait_alu 0xf1ff
	v_add_co_ci_u32_e64 v83, s0, s9, v83, s0
	v_add_co_u32 v4, s0, s8, v4
	s_wait_alu 0xf1ff
	v_add_co_ci_u32_e64 v5, s0, s9, v5, s0
	v_sub_nc_u16 v1, v58, v1
	v_mul_lo_u16 v87, 0xf0, v128
	v_mul_lo_u16 v84, 0xf0, v84
	global_wb scope:SCOPE_SE
	s_wait_dscnt 0x0
	s_barrier_signal -1
	s_barrier_wait -1
	global_inv scope:SCOPE_SE
	s_clause 0x1
	global_load_b64 v[32:33], v[4:5], off offset:1968
	global_load_b64 v[82:83], v[82:83], off offset:1840
	v_lshrrev_b32_e32 v129, 23, v27
	v_and_b32_e32 v130, 0xffff, v1
	v_sub_nc_u16 v1, v46, v87
	v_sub_nc_u16 v90, v47, v84
	v_lshrrev_b32_e32 v92, 23, v24
	v_lshlrev_b32_e32 v85, 3, v126
	v_lshlrev_b32_e32 v86, 3, v127
	;; [unrolled: 1-line block ×3, first 2 shown]
	v_mul_lo_u16 v91, 0xf0, v129
	v_and_b32_e32 v131, 0xffff, v1
	v_and_b32_e32 v132, 0xffff, v90
	v_mul_lo_u16 v90, 0xf0, v92
	s_clause 0x2
	global_load_b64 v[84:85], v85, s[8:9] offset:1840
	global_load_b64 v[86:87], v86, s[8:9] offset:1840
	;; [unrolled: 1-line block ×3, first 2 shown]
	v_sub_nc_u16 v91, v50, v91
	v_lshlrev_b32_e32 v1, 3, v130
	v_lshlrev_b32_e32 v92, 3, v131
	v_lshrrev_b32_e32 v134, 23, v25
	v_sub_nc_u16 v93, v48, v90
	v_lshrrev_b32_e32 v95, 23, v26
	v_and_b32_e32 v133, 0xffff, v91
	global_load_b64 v[90:91], v1, s[8:9] offset:1840
	v_lshrrev_b32_e32 v136, 23, v29
	v_and_b32_e32 v135, 0xffff, v93
	global_load_b64 v[92:93], v92, s[8:9] offset:1840
	v_mul_lo_u16 v1, 0xf0, v134
	v_mul_lo_u16 v98, 0xf0, v95
	v_lshlrev_b32_e32 v94, 3, v132
	v_lshlrev_b32_e32 v96, 3, v133
	v_mul_lo_u16 v99, 0xf0, v136
	v_sub_nc_u16 v1, v51, v1
	v_sub_nc_u16 v98, v53, v98
	s_clause 0x1
	global_load_b64 v[94:95], v94, s[8:9] offset:1840
	global_load_b64 v[96:97], v96, s[8:9] offset:1840
	v_lshrrev_b32_e32 v107, 23, v28
	v_sub_nc_u16 v108, v55, v99
	v_and_b32_e32 v137, 0xffff, v1
	v_lshlrev_b32_e32 v1, 3, v135
	v_and_b32_e32 v138, 0xffff, v98
	v_mul_lo_u16 v107, 0xf0, v107
	v_and_b32_e32 v139, 0xffff, v108
	v_lshlrev_b32_e32 v109, 3, v137
	global_load_b64 v[98:99], v1, s[8:9] offset:1840
	v_lshlrev_b32_e32 v1, 3, v138
	v_sub_nc_u16 v111, v57, v107
	s_clause 0x1
	global_load_b64 v[107:108], v109, s[8:9] offset:1840
	global_load_b64 v[109:110], v1, s[8:9] offset:1840
	v_lshlrev_b32_e32 v1, 3, v139
	v_and_b32_e32 v140, 0xffff, v111
	s_clause 0x1
	global_load_b64 v[111:112], v[4:5], off offset:1840
	global_load_b64 v[113:114], v1, s[8:9] offset:1840
	v_cmp_lt_u32_e64 s0, 0xef, v42
	v_lshlrev_b32_e32 v1, 3, v140
	v_lshlrev_b32_e32 v2, 2, v2
	;; [unrolled: 1-line block ×3, first 2 shown]
	v_lshrrev_b32_e32 v27, 24, v27
	v_lshrrev_b32_e32 v26, 24, v26
	global_load_b64 v[115:116], v1, s[8:9] offset:1840
	ds_load_2addr_stride64_b32 v[117:118], v102 offset0:32 offset1:34
	ds_load_2addr_stride64_b32 v[119:120], v102 offset0:36 offset1:38
	;; [unrolled: 1-line block ×4, first 2 shown]
	v_mul_lo_u16 v27, 0x1e0, v27
	v_lshrrev_b32_e32 v29, 24, v29
	v_lshrrev_b32_e32 v28, 24, v28
	s_delay_alu instid0(VALU_DEP_3) | instskip(NEXT) | instid1(VALU_DEP_3)
	v_sub_nc_u16 v27, v50, v27
	v_mul_lo_u16 v29, 0x1e0, v29
	s_wait_loadcnt 0xe
	v_mul_f32_e32 v142, v21, v33
	s_wait_loadcnt_dscnt 0xd03
	v_mul_f32_e32 v1, v117, v83
	v_mul_f32_e32 v141, v20, v83
	;; [unrolled: 1-line block ×3, first 2 shown]
	v_fmac_f32_e32 v142, v118, v32
	s_delay_alu instid0(VALU_DEP_4) | instskip(NEXT) | instid1(VALU_DEP_4)
	v_fma_f32 v1, v20, v82, -v1
	v_fmac_f32_e32 v141, v117, v82
	s_delay_alu instid0(VALU_DEP_4)
	v_fma_f32 v82, v21, v32, -v83
	s_wait_loadcnt_dscnt 0xc02
	v_mul_f32_e32 v20, v119, v85
	v_mul_f32_e32 v85, v18, v85
	s_wait_loadcnt_dscnt 0xa01
	v_mul_f32_e32 v32, v121, v89
	s_delay_alu instid0(VALU_DEP_3) | instskip(SKIP_4) | instid1(VALU_DEP_3)
	v_fma_f32 v83, v18, v84, -v20
	ds_load_2addr_stride64_b32 v[20:21], v102 offset0:48 offset1:50
	v_mul_f32_e32 v18, v120, v87
	v_mul_f32_e32 v87, v19, v87
	v_fmac_f32_e32 v85, v119, v84
	v_fma_f32 v84, v19, v86, -v18
	s_delay_alu instid0(VALU_DEP_3)
	v_fmac_f32_e32 v87, v120, v86
	v_mul_f32_e32 v86, v16, v89
	v_fma_f32 v89, v16, v88, -v32
	s_wait_loadcnt 0x9
	v_mul_f32_e32 v16, v122, v91
	s_wait_loadcnt_dscnt 0x801
	v_dual_mul_f32 v32, v123, v93 :: v_dual_mul_f32 v91, v17, v91
	ds_load_2addr_stride64_b32 v[18:19], v102 offset0:52 offset1:54
	v_fmac_f32_e32 v86, v121, v88
	v_fma_f32 v88, v17, v90, -v16
	v_mul_f32_e32 v93, v14, v93
	v_fma_f32 v14, v14, v92, -v32
	ds_load_2addr_stride64_b32 v[16:17], v102 offset1:30
	ds_load_2addr_stride64_b32 v[32:33], v102 offset0:56 offset1:58
	s_wait_loadcnt 0x7
	v_dual_fmac_f32 v91, v122, v90 :: v_dual_mul_f32 v90, v124, v95
	v_mul_f32_e32 v95, v15, v95
	s_wait_loadcnt_dscnt 0x603
	v_dual_fmac_f32 v93, v123, v92 :: v_dual_mul_f32 v92, v20, v97
	v_sub_f32_e32 v14, v76, v14
	v_fma_f32 v15, v15, v94, -v90
	s_wait_loadcnt 0x5
	v_dual_fmac_f32 v95, v124, v94 :: v_dual_mul_f32 v94, v21, v99
	v_mul_f32_e32 v90, v12, v97
	v_fma_f32 v12, v12, v96, -v92
	v_mul_f32_e32 v92, v13, v99
	v_sub_f32_e32 v15, v74, v15
	v_fma_f32 v13, v13, v98, -v94
	s_wait_loadcnt 0x4
	v_mul_f32_e32 v94, v10, v108
	v_fmac_f32_e32 v90, v20, v96
	s_wait_dscnt 0x2
	v_mul_f32_e32 v20, v18, v108
	s_wait_loadcnt 0x3
	v_mul_f32_e32 v96, v11, v110
	v_fmac_f32_e32 v92, v21, v98
	v_fmac_f32_e32 v94, v18, v107
	s_wait_loadcnt_dscnt 0x201
	v_dual_mul_f32 v18, v17, v112 :: v_dual_mul_f32 v21, v19, v110
	s_wait_loadcnt_dscnt 0x0
	v_dual_fmac_f32 v96, v19, v109 :: v_dual_mul_f32 v19, v33, v116
	v_fma_f32 v10, v10, v107, -v20
	s_delay_alu instid0(VALU_DEP_3) | instskip(SKIP_2) | instid1(VALU_DEP_3)
	v_fma_f32 v18, v7, v111, -v18
	v_dual_mul_f32 v7, v7, v112 :: v_dual_mul_f32 v20, v32, v114
	v_dual_mul_f32 v97, v8, v114 :: v_dual_mul_f32 v98, v9, v116
	v_sub_f32_e32 v18, v6, v18
	v_fma_f32 v9, v9, v115, -v19
	s_delay_alu instid0(VALU_DEP_4)
	v_fmac_f32_e32 v7, v17, v111
	s_wait_alu 0xf1ff
	v_cndmask_b32_e64 v17, 0, 0x780, s0
	v_sub_f32_e32 v19, v81, v1
	v_fma_f32 v6, v6, 2.0, -v18
	v_fma_f32 v8, v8, v113, -v20
	v_sub_f32_e32 v20, v80, v82
	v_lshl_add_u32 v1, v0, 2, 0
	v_fma_f32 v11, v11, v109, -v21
	v_dual_fmac_f32 v97, v32, v113 :: v_dual_fmac_f32 v98, v33, v115
	ds_load_b32 v99, v52
	ds_load_b32 v107, v49
	;; [unrolled: 1-line block ×14, first 2 shown]
	global_wb scope:SCOPE_SE
	s_wait_dscnt 0x0
	s_barrier_signal -1
	s_barrier_wait -1
	global_inv scope:SCOPE_SE
	ds_store_2addr_b32 v102, v6, v18 offset1:240
	v_mul_u32_u24_e32 v18, 0x780, v31
	v_lshlrev_b32_e32 v21, 2, v126
	v_dual_sub_f32 v31, v79, v83 :: v_dual_sub_f32 v32, v78, v84
	v_lshl_add_u32 v33, v127, 2, 0
	v_add3_u32 v2, 0, v17, v2
	v_fma_f32 v6, v81, 2.0, -v19
	v_fma_f32 v17, v80, 2.0, -v20
	v_add_nc_u32_e32 v84, 0x7c0, v1
	v_add3_u32 v120, 0, v18, v21
	v_fma_f32 v18, v79, 2.0, -v31
	v_fma_f32 v21, v78, 2.0, -v32
	v_add_nc_u32_e32 v121, 0xf00, v33
	v_mul_u32_u24_e32 v33, 0x780, v125
	ds_store_2addr_b32 v2, v6, v19 offset1:240
	ds_store_2addr_b32 v84, v17, v20 offset1:240
	;; [unrolled: 1-line block ×4, first 2 shown]
	v_sub_f32_e32 v17, v75, v89
	v_mul_u32_u24_e32 v20, 0x780, v128
	v_dual_sub_f32 v18, v77, v88 :: v_dual_lshlrev_b32 v21, 2, v131
	v_lshl_add_u32 v19, v130, 2, 0
	v_add3_u32 v6, 0, v33, v30
	v_fma_f32 v30, v75, 2.0, -v17
	s_delay_alu instid0(VALU_DEP_4)
	v_add3_u32 v89, 0, v20, v21
	v_lshl_add_u32 v20, v132, 2, 0
	v_fma_f32 v31, v77, 2.0, -v18
	v_add_nc_u32_e32 v88, 0x1680, v19
	v_fma_f32 v19, v76, 2.0, -v14
	ds_store_2addr_b32 v6, v30, v17 offset1:240
	ds_store_2addr_b32 v88, v31, v18 offset1:240
	ds_store_2addr_b32 v89, v19, v14 offset1:240
	v_fma_f32 v14, v74, 2.0, -v15
	v_add_nc_u32_e32 v122, 0x1e00, v20
	v_mul_u32_u24_e32 v17, 0x780, v129
	v_lshlrev_b32_e32 v18, 2, v133
	v_dual_sub_f32 v12, v72, v12 :: v_dual_sub_f32 v13, v73, v13
	v_lshl_add_u32 v19, v135, 2, 0
	ds_store_2addr_b32 v122, v14, v15 offset1:240
	v_add3_u32 v123, 0, v17, v18
	v_fma_f32 v14, v72, 2.0, -v12
	v_fma_f32 v15, v73, 2.0, -v13
	v_add_nc_u32_e32 v124, 0x2580, v19
	v_mul_u32_u24_e32 v17, 0x780, v134
	v_lshlrev_b32_e32 v18, 2, v137
	v_sub_f32_e32 v10, v70, v10
	ds_store_2addr_b32 v123, v14, v12 offset1:240
	v_sub_f32_e32 v11, v71, v11
	ds_store_2addr_b32 v124, v15, v13 offset1:240
	v_lshl_add_u32 v13, v138, 2, 0
	v_add3_u32 v125, 0, v17, v18
	v_mul_u32_u24_e32 v15, 0x780, v136
	v_dual_sub_f32 v8, v54, v8 :: v_dual_lshlrev_b32 v17, 2, v139
	v_sub_f32_e32 v9, v56, v9
	v_lshl_add_u32 v18, v140, 2, 0
	v_fma_f32 v12, v70, 2.0, -v10
	v_sub_f32_e32 v7, v16, v7
	v_fma_f32 v14, v71, 2.0, -v11
	v_add_nc_u32_e32 v126, 0x2d00, v13
	v_add3_u32 v127, 0, v15, v17
	v_fma_f32 v13, v54, 2.0, -v8
	v_fma_f32 v15, v56, 2.0, -v9
	v_add_nc_u32_e32 v54, 0x3480, v18
	ds_store_2addr_b32 v125, v12, v10 offset1:240
	ds_store_2addr_b32 v126, v14, v11 offset1:240
	ds_store_2addr_b32 v127, v13, v8 offset1:240
	ds_store_2addr_b32 v54, v15, v9 offset1:240
	v_fma_f32 v8, v16, 2.0, -v7
	v_sub_f32_e32 v9, v99, v141
	v_dual_sub_f32 v56, v107, v142 :: v_dual_sub_f32 v85, v114, v85
	v_sub_f32_e32 v87, v113, v87
	global_wb scope:SCOPE_SE
	s_wait_dscnt 0x0
	s_barrier_signal -1
	s_barrier_wait -1
	global_inv scope:SCOPE_SE
	ds_load_b32 v18, v103
	ds_load_b32 v19, v34
	;; [unrolled: 1-line block ×14, first 2 shown]
	ds_load_2addr_stride64_b32 v[32:33], v102 offset1:30
	ds_load_2addr_stride64_b32 v[70:71], v102 offset0:32 offset1:34
	ds_load_2addr_stride64_b32 v[72:73], v102 offset0:36 offset1:38
	;; [unrolled: 1-line block ×7, first 2 shown]
	global_wb scope:SCOPE_SE
	s_wait_dscnt 0x0
	s_barrier_signal -1
	s_barrier_wait -1
	global_inv scope:SCOPE_SE
	v_fma_f32 v99, v99, 2.0, -v9
	ds_store_2addr_b32 v102, v8, v7 offset1:240
	v_fma_f32 v7, v107, 2.0, -v56
	v_fma_f32 v8, v114, 2.0, -v85
	;; [unrolled: 1-line block ×3, first 2 shown]
	ds_store_2addr_b32 v2, v99, v9 offset1:240
	v_sub_f32_e32 v2, v108, v86
	ds_store_2addr_b32 v84, v7, v56 offset1:240
	ds_store_2addr_b32 v120, v8, v85 offset1:240
	;; [unrolled: 1-line block ×3, first 2 shown]
	v_sub_f32_e32 v7, v109, v91
	v_dual_sub_f32 v9, v110, v93 :: v_dual_sub_f32 v56, v111, v95
	v_fma_f32 v8, v108, 2.0, -v2
	v_sub_f32_e32 v84, v112, v90
	s_delay_alu instid0(VALU_DEP_4)
	v_fma_f32 v85, v109, 2.0, -v7
	v_mul_lo_u16 v107, 0x1e0, v28
	ds_store_2addr_b32 v6, v8, v2 offset1:240
	v_fma_f32 v2, v110, 2.0, -v9
	ds_store_2addr_b32 v88, v85, v7 offset1:240
	v_sub_f32_e32 v7, v115, v92
	v_fma_f32 v6, v111, 2.0, -v56
	v_fma_f32 v8, v112, 2.0, -v84
	ds_store_2addr_b32 v89, v2, v9 offset1:240
	ds_store_2addr_b32 v122, v6, v56 offset1:240
	;; [unrolled: 1-line block ×3, first 2 shown]
	v_fma_f32 v6, v115, 2.0, -v7
	v_sub_f32_e32 v2, v116, v94
	v_dual_sub_f32 v8, v117, v96 :: v_dual_sub_f32 v9, v118, v97
	v_sub_f32_e32 v56, v119, v98
	ds_store_2addr_b32 v124, v6, v7 offset1:240
	v_lshlrev_b64_e32 v[6:7], 3, v[42:43]
	v_fma_f32 v84, v116, 2.0, -v2
	v_fma_f32 v85, v117, 2.0, -v8
	;; [unrolled: 1-line block ×4, first 2 shown]
	v_lshrrev_b32_e32 v43, 24, v22
	v_add_co_u32 v6, s0, s8, v6
	s_wait_alu 0xf1ff
	v_add_co_ci_u32_e64 v7, s0, s9, v7, s0
	ds_store_2addr_b32 v125, v84, v2 offset1:240
	v_add_nc_u32_e32 v2, 0xffffffa0, v0
	v_cmp_gt_u32_e64 s0, 0x1e0, v64
	ds_store_2addr_b32 v126, v85, v8 offset1:240
	ds_store_2addr_b32 v127, v86, v9 offset1:240
	ds_store_2addr_b32 v54, v87, v56 offset1:240
	v_lshlrev_b64_e32 v[8:9], 3, v[44:45]
	global_wb scope:SCOPE_SE
	s_wait_dscnt 0x0
	s_barrier_signal -1
	s_wait_alu 0xf1ff
	v_cndmask_b32_e64 v2, v2, v64, s0
	s_barrier_wait -1
	global_inv scope:SCOPE_SE
	v_add_co_u32 v8, s0, s8, v8
	v_lshlrev_b64_e32 v[84:85], 3, v[2:3]
	s_wait_alu 0xf1ff
	v_add_co_ci_u32_e64 v9, s0, s9, v9, s0
	v_lshrrev_b32_e32 v45, 24, v23
	s_clause 0x1
	global_load_b64 v[22:23], v[6:7], off offset:3760
	global_load_b64 v[86:87], v[8:9], off offset:3760
	v_add_co_u32 v84, s0, s8, v84
	s_wait_alu 0xf1ff
	v_add_co_ci_u32_e64 v85, s0, s9, v85, s0
	v_and_b32_e32 v56, 0xffff, v27
	v_lshrrev_b32_e32 v27, 24, v24
	v_lshrrev_b32_e32 v119, 24, v25
	s_clause 0x1
	global_load_b64 v[84:85], v[84:85], off offset:3760
	global_load_b64 v[88:89], v[4:5], off offset:4016
	v_mul_lo_u16 v54, 0x1e0, v43
	v_mul_lo_u16 v45, 0x1e0, v45
	s_clause 0x1
	global_load_b64 v[24:25], v[4:5], off offset:5040
	global_load_b64 v[90:91], v[4:5], off offset:6064
	v_mul_lo_u16 v27, 0x1e0, v27
	v_mul_lo_u16 v94, 0x1e0, v119
	v_sub_nc_u16 v54, v46, v54
	v_sub_nc_u16 v45, v47, v45
	v_mul_lo_u16 v98, 0x1e0, v26
	v_sub_nc_u16 v96, v48, v27
	v_sub_nc_u16 v97, v51, v94
	v_and_b32_e32 v54, 0xffff, v54
	v_and_b32_e32 v45, 0xffff, v45
	v_lshlrev_b32_e32 v95, 3, v56
	v_and_b32_e32 v120, 0xffff, v96
	v_and_b32_e32 v121, 0xffff, v97
	v_sub_nc_u16 v96, v53, v98
	v_sub_nc_u16 v98, v55, v29
	v_lshlrev_b32_e32 v92, 3, v54
	v_lshlrev_b32_e32 v93, 3, v45
	;; [unrolled: 1-line block ×4, first 2 shown]
	v_and_b32_e32 v122, 0xffff, v96
	v_and_b32_e32 v123, 0xffff, v98
	s_clause 0x2
	global_load_b64 v[26:27], v92, s[8:9] offset:3760
	global_load_b64 v[92:93], v93, s[8:9] offset:3760
	;; [unrolled: 1-line block ×3, first 2 shown]
	v_sub_nc_u16 v98, v57, v107
	s_clause 0x1
	global_load_b64 v[28:29], v97, s[8:9] offset:3760
	global_load_b64 v[96:97], v99, s[8:9] offset:3760
	v_lshlrev_b32_e32 v99, 3, v122
	v_lshlrev_b32_e32 v107, 3, v123
	v_and_b32_e32 v124, 0xffff, v98
	s_clause 0x2
	global_load_b64 v[98:99], v99, s[8:9] offset:3760
	global_load_b64 v[107:108], v107, s[8:9] offset:3760
	global_load_b64 v[109:110], v[4:5], off offset:3760
	v_cmp_lt_u32_e64 s0, 0x1df, v64
	v_lshlrev_b32_e32 v111, 3, v124
	v_lshlrev_b32_e32 v2, 2, v2
	global_load_b64 v[111:112], v111, s[8:9] offset:3760
	ds_load_2addr_stride64_b32 v[113:114], v102 offset0:32 offset1:34
	ds_load_2addr_stride64_b32 v[115:116], v102 offset0:36 offset1:38
	ds_load_2addr_stride64_b32 v[117:118], v102 offset0:40 offset1:42
	s_wait_loadcnt_dscnt 0xe02
	v_mul_f32_e32 v125, v113, v23
	v_mul_f32_e32 v126, v70, v23
	s_delay_alu instid0(VALU_DEP_2) | instskip(SKIP_2) | instid1(VALU_DEP_3)
	v_fma_f32 v125, v70, v22, -v125
	s_wait_loadcnt 0xd
	v_mul_f32_e32 v70, v114, v87
	v_dual_fmac_f32 v126, v113, v22 :: v_dual_mul_f32 v87, v71, v87
	ds_load_2addr_stride64_b32 v[22:23], v102 offset0:44 offset1:46
	s_wait_loadcnt_dscnt 0xc02
	v_mul_f32_e32 v113, v115, v85
	v_mul_f32_e32 v85, v72, v85
	s_wait_loadcnt 0xb
	v_mul_f32_e32 v127, v116, v89
	v_fma_f32 v128, v71, v86, -v70
	v_fmac_f32_e32 v87, v114, v86
	v_fma_f32 v86, v72, v84, -v113
	v_mul_f32_e32 v89, v73, v89
	s_wait_loadcnt_dscnt 0xa01
	v_mul_f32_e32 v113, v117, v25
	ds_load_2addr_stride64_b32 v[70:71], v102 offset0:48 offset1:50
	v_mul_f32_e32 v114, v74, v25
	s_wait_loadcnt 0x9
	v_mul_f32_e32 v25, v118, v91
	v_fmac_f32_e32 v85, v115, v84
	v_fma_f32 v84, v73, v88, -v127
	ds_load_2addr_stride64_b32 v[72:73], v102 offset0:52 offset1:54
	v_fmac_f32_e32 v89, v116, v88
	v_fma_f32 v88, v74, v24, -v113
	v_fmac_f32_e32 v114, v117, v24
	v_fma_f32 v113, v75, v90, -v25
	v_mul_f32_e32 v91, v75, v91
	ds_load_2addr_stride64_b32 v[24:25], v102 offset0:56 offset1:58
	ds_load_2addr_stride64_b32 v[74:75], v102 offset1:30
	s_wait_loadcnt_dscnt 0x804
	v_mul_f32_e32 v115, v22, v27
	s_wait_loadcnt 0x7
	v_dual_mul_f32 v116, v76, v27 :: v_dual_mul_f32 v27, v23, v93
	v_mul_f32_e32 v93, v77, v93
	v_fmac_f32_e32 v91, v118, v90
	v_fma_f32 v76, v76, v26, -v115
	s_delay_alu instid0(VALU_DEP_4)
	v_fmac_f32_e32 v116, v22, v26
	s_wait_loadcnt_dscnt 0x503
	v_mul_f32_e32 v26, v71, v29
	v_mul_f32_e32 v29, v79, v29
	v_fma_f32 v22, v77, v92, -v27
	s_wait_loadcnt_dscnt 0x402
	v_dual_mul_f32 v90, v78, v95 :: v_dual_mul_f32 v27, v72, v97
	v_fma_f32 v26, v79, v28, -v26
	v_dual_fmac_f32 v29, v71, v28 :: v_dual_mul_f32 v28, v80, v97
	v_fmac_f32_e32 v93, v23, v92
	v_mul_f32_e32 v23, v70, v95
	s_wait_loadcnt_dscnt 0x100
	v_mul_f32_e32 v77, v75, v110
	v_fmac_f32_e32 v90, v70, v94
	v_fma_f32 v27, v80, v96, -v27
	v_mul_f32_e32 v70, v73, v99
	v_dual_mul_f32 v80, v81, v99 :: v_dual_mul_f32 v71, v24, v108
	v_fmac_f32_e32 v28, v72, v96
	v_fma_f32 v72, v33, v109, -v77
	s_delay_alu instid0(VALU_DEP_4) | instskip(NEXT) | instid1(VALU_DEP_4)
	v_fma_f32 v70, v81, v98, -v70
	v_dual_fmac_f32 v80, v73, v98 :: v_dual_mul_f32 v81, v82, v108
	s_wait_loadcnt 0x0
	v_mul_f32_e32 v73, v25, v112
	v_fma_f32 v71, v82, v107, -v71
	v_dual_mul_f32 v82, v83, v112 :: v_dual_mul_f32 v33, v33, v110
	v_sub_f32_e32 v72, v32, v72
	v_fmac_f32_e32 v81, v24, v107
	v_fma_f32 v24, v83, v111, -v73
	s_delay_alu instid0(VALU_DEP_4) | instskip(SKIP_3) | instid1(VALU_DEP_4)
	v_dual_sub_f32 v73, v31, v125 :: v_dual_fmac_f32 v82, v25, v111
	v_fmac_f32_e32 v33, v75, v109
	v_fma_f32 v25, v32, 2.0, -v72
	v_sub_f32_e32 v75, v30, v128
	v_fma_f32 v31, v31, 2.0, -v73
	v_fma_f32 v23, v78, v94, -v23
	ds_load_b32 v32, v52
	ds_load_b32 v83, v49
	;; [unrolled: 1-line block ×14, first 2 shown]
	global_wb scope:SCOPE_SE
	s_wait_dscnt 0x0
	s_barrier_signal -1
	s_barrier_wait -1
	global_inv scope:SCOPE_SE
	ds_store_b32 v102, v25
	ds_store_b32 v102, v72 offset:1920
	v_fma_f32 v25, v30, 2.0, -v75
	s_wait_alu 0xf1ff
	v_cndmask_b32_e64 v30, 0, 0xf00, s0
	ds_store_b32 v52, v31
	ds_store_b32 v52, v73 offset:1920
	v_dual_sub_f32 v31, v21, v86 :: v_dual_sub_f32 v72, v20, v84
	v_sub_f32_e32 v73, v18, v88
	v_add3_u32 v2, 0, v30, v2
	v_sub_f32_e32 v30, v19, v113
	s_delay_alu instid0(VALU_DEP_4)
	v_fma_f32 v21, v21, 2.0, -v31
	v_fma_f32 v20, v20, 2.0, -v72
	;; [unrolled: 1-line block ×3, first 2 shown]
	v_add_nc_u32_e32 v84, 0x80, v1
	v_fma_f32 v19, v19, 2.0, -v30
	v_add_nc_u32_e32 v86, 0x1380, v1
	ds_store_b32 v49, v25
	ds_store_b32 v49, v75 offset:1920
	ds_store_b32 v2, v21
	ds_store_b32 v2, v31 offset:1920
	ds_store_2addr_stride64_b32 v84, v20, v18 offset0:15 offset1:17
	ds_store_2addr_b32 v86, v19, v72 offset1:224
	v_mul_u32_u24_e32 v18, 0xf00, v43
	v_dual_sub_f32 v20, v16, v76 :: v_dual_lshlrev_b32 v19, 2, v54
	ds_store_2addr_stride64_b32 v1, v73, v30 offset0:25 offset1:27
	v_sub_f32_e32 v21, v17, v22
	v_sub_f32_e32 v25, v13, v27
	v_add3_u32 v30, 0, v18, v19
	v_fma_f32 v16, v16, 2.0, -v20
	v_sub_f32_e32 v18, v15, v23
	ds_store_b32 v30, v16
	ds_store_b32 v30, v20 offset:1920
	v_sub_f32_e32 v16, v14, v26
	v_mul_u32_u24_e32 v19, 0xf00, v119
	v_lshlrev_b32_e32 v20, 2, v121
	v_fma_f32 v17, v17, 2.0, -v21
	v_lshl_add_u32 v23, v45, 2, 0
	v_sub_f32_e32 v22, v74, v33
	v_fma_f32 v15, v15, 2.0, -v18
	v_lshl_add_u32 v33, v56, 2, 0
	v_fma_f32 v14, v14, 2.0, -v16
	v_lshl_add_u32 v43, v120, 2, 0
	v_add3_u32 v45, 0, v19, v20
	v_fma_f32 v13, v13, 2.0, -v25
	ds_store_b32 v23, v17 offset:7680
	ds_store_b32 v23, v21 offset:9600
	;; [unrolled: 1-line block ×6, first 2 shown]
	v_dual_sub_f32 v14, v11, v70 :: v_dual_sub_f32 v15, v10, v71
	v_sub_f32_e32 v112, v32, v126
	ds_store_b32 v45, v13
	ds_store_b32 v45, v25 offset:1920
	v_sub_f32_e32 v13, v12, v24
	v_fma_f32 v31, v74, 2.0, -v22
	v_fma_f32 v11, v11, 2.0, -v14
	v_lshl_add_u32 v54, v122, 2, 0
	v_fma_f32 v10, v10, 2.0, -v15
	v_lshl_add_u32 v56, v123, 2, 0
	v_sub_f32_e32 v87, v83, v87
	v_fma_f32 v32, v32, 2.0, -v112
	v_fma_f32 v12, v12, 2.0, -v13
	v_lshl_add_u32 v88, v124, 2, 0
	ds_store_b32 v54, v11 offset:11520
	ds_store_b32 v54, v14 offset:13440
	;; [unrolled: 1-line block ×6, first 2 shown]
	global_wb scope:SCOPE_SE
	s_wait_dscnt 0x0
	s_barrier_signal -1
	s_barrier_wait -1
	global_inv scope:SCOPE_SE
	ds_load_b32 v19, v103
	ds_load_b32 v16, v34
	;; [unrolled: 1-line block ×14, first 2 shown]
	ds_load_2addr_stride64_b32 v[20:21], v102 offset1:30
	ds_load_2addr_stride64_b32 v[24:25], v102 offset0:32 offset1:34
	ds_load_2addr_stride64_b32 v[26:27], v102 offset0:36 offset1:38
	;; [unrolled: 1-line block ×7, first 2 shown]
	global_wb scope:SCOPE_SE
	s_wait_dscnt 0x0
	s_barrier_signal -1
	s_barrier_wait -1
	global_inv scope:SCOPE_SE
	ds_store_b32 v102, v31
	ds_store_b32 v102, v22 offset:1920
	v_sub_f32_e32 v22, v99, v85
	v_fma_f32 v83, v83, 2.0, -v87
	ds_store_b32 v52, v32
	ds_store_b32 v52, v112 offset:1920
	v_dual_sub_f32 v31, v98, v89 :: v_dual_sub_f32 v32, v92, v114
	v_sub_f32_e32 v89, v94, v91
	v_fma_f32 v85, v99, 2.0, -v22
	ds_store_b32 v49, v83
	ds_store_b32 v49, v87 offset:1920
	v_fma_f32 v83, v98, 2.0, -v31
	v_fma_f32 v87, v92, 2.0, -v32
	;; [unrolled: 1-line block ×3, first 2 shown]
	v_sub_f32_e32 v92, v95, v116
	ds_store_b32 v2, v85
	ds_store_b32 v2, v22 offset:1920
	ds_store_2addr_stride64_b32 v84, v83, v87 offset0:15 offset1:17
	v_sub_f32_e32 v2, v96, v93
	v_sub_f32_e32 v29, v107, v29
	ds_store_2addr_b32 v86, v91, v31 offset1:224
	v_fma_f32 v22, v95, 2.0, -v92
	v_sub_f32_e32 v31, v97, v90
	ds_store_2addr_stride64_b32 v1, v32, v89 offset0:25 offset1:27
	v_fma_f32 v32, v96, 2.0, -v2
	v_sub_f32_e32 v28, v108, v28
	v_sub_f32_e32 v80, v109, v80
	ds_store_b32 v30, v22
	ds_store_b32 v30, v92 offset:1920
	v_fma_f32 v22, v97, 2.0, -v31
	v_sub_f32_e32 v81, v110, v81
	v_fma_f32 v30, v107, 2.0, -v29
	v_fma_f32 v83, v108, 2.0, -v28
	ds_store_b32 v23, v32 offset:7680
	ds_store_b32 v23, v2 offset:9600
	;; [unrolled: 1-line block ×6, first 2 shown]
	v_sub_f32_e32 v2, v111, v82
	v_fma_f32 v22, v109, 2.0, -v80
	v_fma_f32 v23, v110, 2.0, -v81
	ds_store_b32 v45, v83
	ds_store_b32 v45, v28 offset:1920
	v_lshlrev_b64_e32 v[32:33], 3, v[58:59]
	v_fma_f32 v28, v111, 2.0, -v2
	ds_store_b32 v54, v22 offset:11520
	ds_store_b32 v54, v80 offset:13440
	;; [unrolled: 1-line block ×6, first 2 shown]
	v_lshlrev_b64_e32 v[22:23], 3, v[64:65]
	v_lshlrev_b64_e32 v[28:29], 3, v[62:63]
	v_add_nc_u32_e32 v2, 0xfffffc40, v46
	global_wb scope:SCOPE_SE
	s_wait_dscnt 0x0
	s_barrier_signal -1
	s_barrier_wait -1
	v_add_co_u32 v30, s0, s8, v22
	s_wait_alu 0xf1ff
	v_add_co_ci_u32_e64 v31, s0, s9, v23, s0
	v_add_co_u32 v22, s0, s8, v28
	s_wait_alu 0xf1ff
	v_add_co_ci_u32_e64 v23, s0, s9, v29, s0
	v_lshlrev_b64_e32 v[28:29], 3, v[60:61]
	global_inv scope:SCOPE_SE
	s_clause 0x3
	global_load_b64 v[60:61], v[6:7], off offset:7600
	global_load_b64 v[62:63], v[8:9], off offset:7600
	;; [unrolled: 1-line block ×4, first 2 shown]
	v_add_co_u32 v28, s0, s8, v28
	s_wait_alu 0xf1ff
	v_add_co_ci_u32_e64 v29, s0, s9, v29, s0
	v_cmp_gt_u32_e64 s0, 0x3c0, v46
	s_wait_alu 0xf1ff
	s_delay_alu instid0(VALU_DEP_1)
	v_cndmask_b32_e64 v2, v2, v46, s0
	v_add_co_u32 v32, s0, s8, v32
	s_wait_alu 0xf1ff
	v_add_co_ci_u32_e64 v33, s0, s9, v33, s0
	s_clause 0x1
	global_load_b64 v[82:83], v[28:29], off offset:7600
	global_load_b64 v[84:85], v[32:33], off offset:7600
	v_lshlrev_b64_e32 v[58:59], 3, v[2:3]
	v_lshlrev_b32_e32 v2, 2, v2
	s_delay_alu instid0(VALU_DEP_2) | instskip(SKIP_1) | instid1(VALU_DEP_3)
	v_add_co_u32 v58, s0, s8, v58
	s_wait_alu 0xf1ff
	v_add_co_ci_u32_e64 v59, s0, s9, v59, s0
	s_clause 0x8
	global_load_b64 v[58:59], v[58:59], off offset:7600
	global_load_b64 v[86:87], v[4:5], off offset:8112
	;; [unrolled: 1-line block ×9, first 2 shown]
	ds_load_2addr_stride64_b32 v[109:110], v102 offset0:32 offset1:34
	ds_load_2addr_stride64_b32 v[111:112], v102 offset0:36 offset1:38
	;; [unrolled: 1-line block ×3, first 2 shown]
	v_cmp_lt_u32_e64 s0, 0x3bf, v46
	s_wait_loadcnt_dscnt 0xe02
	v_mul_f32_e32 v43, v109, v61
	v_mul_f32_e32 v54, v24, v61
	s_wait_loadcnt_dscnt 0xc01
	v_dual_mul_f32 v56, v25, v63 :: v_dual_mul_f32 v45, v111, v65
	s_delay_alu instid0(VALU_DEP_3)
	v_fma_f32 v43, v24, v60, -v43
	s_wait_loadcnt 0xb
	v_dual_mul_f32 v24, v110, v63 :: v_dual_mul_f32 v63, v112, v81
	v_fmac_f32_e32 v54, v109, v60
	ds_load_2addr_stride64_b32 v[60:61], v102 offset0:44 offset1:46
	v_mul_f32_e32 v109, v26, v65
	v_fma_f32 v116, v25, v62, -v24
	v_fmac_f32_e32 v56, v110, v62
	v_fma_f32 v110, v27, v80, -v63
	v_mul_f32_e32 v81, v27, v81
	ds_load_2addr_stride64_b32 v[24:25], v102 offset0:48 offset1:50
	v_fma_f32 v45, v26, v64, -v45
	v_fmac_f32_e32 v109, v111, v64
	ds_load_2addr_stride64_b32 v[26:27], v102 offset0:52 offset1:54
	v_fmac_f32_e32 v81, v112, v80
	v_sub_f32_e32 v43, v119, v43
	v_sub_f32_e32 v45, v117, v45
	s_wait_loadcnt_dscnt 0x903
	v_dual_mul_f32 v62, v113, v83 :: v_dual_mul_f32 v63, v114, v85
	v_mul_f32_e32 v83, v70, v83
	s_delay_alu instid0(VALU_DEP_2) | instskip(NEXT) | instid1(VALU_DEP_3)
	v_fma_f32 v70, v70, v82, -v62
	v_fma_f32 v80, v71, v84, -v63
	ds_load_2addr_stride64_b32 v[62:63], v102 offset0:56 offset1:58
	ds_load_2addr_stride64_b32 v[64:65], v102 offset1:30
	v_dual_fmac_f32 v83, v113, v82 :: v_dual_mul_f32 v82, v71, v85
	s_wait_loadcnt 0x8
	v_mul_f32_e32 v85, v72, v59
	s_wait_dscnt 0x4
	v_mul_f32_e32 v71, v60, v59
	s_wait_loadcnt 0x7
	v_mul_f32_e32 v59, v61, v87
	v_dual_mul_f32 v87, v73, v87 :: v_dual_fmac_f32 v82, v114, v84
	s_wait_loadcnt 0x6
	v_dual_fmac_f32 v85, v60, v58 :: v_dual_mul_f32 v84, v74, v89
	s_wait_loadcnt_dscnt 0x503
	v_mul_f32_e32 v60, v25, v91
	v_fma_f32 v71, v72, v58, -v71
	v_fma_f32 v58, v73, v86, -v59
	v_fmac_f32_e32 v87, v61, v86
	v_dual_mul_f32 v59, v24, v89 :: v_dual_mul_f32 v86, v75, v91
	v_fmac_f32_e32 v84, v24, v88
	v_fma_f32 v24, v75, v90, -v60
	s_wait_loadcnt_dscnt 0x302
	v_dual_mul_f32 v75, v76, v93 :: v_dual_mul_f32 v60, v27, v95
	s_wait_loadcnt_dscnt 0x100
	v_dual_mul_f32 v72, v65, v99 :: v_dual_mul_f32 v61, v26, v93
	s_delay_alu instid0(VALU_DEP_2) | instskip(NEXT) | instid1(VALU_DEP_3)
	v_dual_fmac_f32 v86, v25, v90 :: v_dual_fmac_f32 v75, v26, v92
	v_fma_f32 v26, v77, v94, -v60
	s_delay_alu instid0(VALU_DEP_3) | instskip(NEXT) | instid1(VALU_DEP_4)
	v_fma_f32 v60, v21, v98, -v72
	v_fma_f32 v25, v76, v92, -v61
	v_dual_mul_f32 v76, v77, v95 :: v_dual_mul_f32 v61, v62, v97
	s_delay_alu instid0(VALU_DEP_3) | instskip(NEXT) | instid1(VALU_DEP_2)
	v_dual_mul_f32 v77, v78, v97 :: v_dual_sub_f32 v60, v20, v60
	v_dual_mul_f32 v21, v21, v99 :: v_dual_fmac_f32 v76, v27, v94
	s_delay_alu instid0(VALU_DEP_3)
	v_fma_f32 v27, v78, v96, -v61
	s_wait_loadcnt 0x0
	v_mul_f32_e32 v78, v79, v108
	v_mul_f32_e32 v61, v63, v108
	v_fmac_f32_e32 v77, v62, v96
	v_fma_f32 v20, v20, 2.0, -v60
	v_sub_f32_e32 v62, v118, v116
	v_fmac_f32_e32 v78, v63, v107
	v_sub_f32_e32 v63, v115, v110
	v_fmac_f32_e32 v21, v65, v98
	v_fma_f32 v65, v119, 2.0, -v43
	v_fma_f32 v59, v74, v88, -v59
	v_fma_f32 v61, v79, v107, -v61
	ds_load_b32 v79, v52
	ds_load_b32 v88, v49
	ds_load_b32 v89, v103
	ds_load_b32 v90, v34
	ds_load_b32 v91, v35
	ds_load_b32 v92, v36
	ds_load_b32 v93, v37
	ds_load_b32 v94, v106
	ds_load_b32 v95, v105
	ds_load_b32 v96, v104
	ds_load_b32 v97, v66
	ds_load_b32 v98, v67
	ds_load_b32 v99, v68
	ds_load_b32 v107, v69
	global_wb scope:SCOPE_SE
	s_wait_dscnt 0x0
	s_barrier_signal -1
	s_barrier_wait -1
	global_inv scope:SCOPE_SE
	ds_store_2addr_stride64_b32 v102, v20, v60 offset1:15
	v_fma_f32 v20, v118, 2.0, -v62
	v_fma_f32 v60, v117, 2.0, -v45
	;; [unrolled: 1-line block ×3, first 2 shown]
	v_sub_f32_e32 v70, v19, v70
	ds_store_2addr_stride64_b32 v52, v65, v43 offset1:15
	ds_store_2addr_stride64_b32 v49, v20, v62 offset1:15
	;; [unrolled: 1-line block ×4, first 2 shown]
	v_sub_f32_e32 v20, v16, v80
	s_wait_alu 0xf1ff
	v_cndmask_b32_e64 v43, 0, 0x1e00, s0
	v_dual_sub_f32 v45, v15, v71 :: v_dual_sub_f32 v58, v17, v58
	v_sub_f32_e32 v59, v18, v59
	v_fma_f32 v19, v19, 2.0, -v70
	v_fma_f32 v16, v16, 2.0, -v20
	v_add3_u32 v2, 0, v43, v2
	v_fma_f32 v15, v15, 2.0, -v45
	v_fma_f32 v17, v17, 2.0, -v58
	;; [unrolled: 1-line block ×3, first 2 shown]
	v_sub_f32_e32 v24, v13, v24
	ds_store_2addr_stride64_b32 v103, v19, v70 offset1:15
	ds_store_2addr_stride64_b32 v34, v16, v20 offset1:15
	;; [unrolled: 1-line block ×3, first 2 shown]
	ds_store_2addr_stride64_b32 v1, v17, v18 offset0:31 offset1:33
	ds_store_2addr_stride64_b32 v1, v59, v24 offset0:48 offset1:50
	v_sub_f32_e32 v15, v10, v25
	v_sub_f32_e32 v18, v14, v61
	v_dual_sub_f32 v16, v11, v26 :: v_dual_sub_f32 v17, v12, v27
	v_fma_f32 v13, v13, 2.0, -v24
	s_delay_alu instid0(VALU_DEP_4)
	v_fma_f32 v10, v10, 2.0, -v15
	v_sub_f32_e32 v80, v64, v21
	v_fma_f32 v14, v14, 2.0, -v18
	v_fma_f32 v11, v11, 2.0, -v16
	;; [unrolled: 1-line block ×3, first 2 shown]
	ds_store_2addr_stride64_b32 v1, v13, v10 offset0:35 offset1:37
	ds_store_2addr_stride64_b32 v1, v15, v16 offset0:52 offset1:54
	;; [unrolled: 1-line block ×3, first 2 shown]
	v_fma_f32 v108, v64, 2.0, -v80
	ds_store_2addr_stride64_b32 v1, v14, v58 offset0:43 offset1:46
	ds_store_2addr_stride64_b32 v1, v17, v18 offset0:56 offset1:58
	global_wb scope:SCOPE_SE
	s_wait_dscnt 0x0
	s_barrier_signal -1
	s_barrier_wait -1
	global_inv scope:SCOPE_SE
	ds_load_b32 v43, v103
	ds_load_b32 v45, v34
	;; [unrolled: 1-line block ×14, first 2 shown]
	ds_load_2addr_stride64_b32 v[24:25], v102 offset1:30
	ds_load_2addr_stride64_b32 v[26:27], v102 offset0:32 offset1:34
	ds_load_2addr_stride64_b32 v[10:11], v102 offset0:36 offset1:38
	;; [unrolled: 1-line block ×7, first 2 shown]
	v_sub_f32_e32 v54, v79, v54
	v_sub_f32_e32 v56, v88, v56
	;; [unrolled: 1-line block ×4, first 2 shown]
	global_wb scope:SCOPE_SE
	s_wait_dscnt 0x0
	v_fma_f32 v79, v79, 2.0, -v54
	v_fma_f32 v88, v88, 2.0, -v56
	;; [unrolled: 1-line block ×3, first 2 shown]
	s_barrier_signal -1
	s_barrier_wait -1
	global_inv scope:SCOPE_SE
	ds_store_2addr_stride64_b32 v102, v108, v80 offset1:15
	ds_store_2addr_stride64_b32 v52, v79, v54 offset1:15
	;; [unrolled: 1-line block ×4, first 2 shown]
	v_sub_f32_e32 v52, v89, v83
	v_sub_f32_e32 v54, v90, v82
	;; [unrolled: 1-line block ×3, first 2 shown]
	v_dual_sub_f32 v58, v92, v87 :: v_dual_sub_f32 v79, v93, v84
	v_fma_f32 v49, v94, 2.0, -v81
	v_fma_f32 v80, v89, 2.0, -v52
	;; [unrolled: 1-line block ×6, first 2 shown]
	ds_store_2addr_stride64_b32 v106, v49, v81 offset1:15
	ds_store_2addr_stride64_b32 v103, v80, v52 offset1:15
	;; [unrolled: 1-line block ×4, first 2 shown]
	ds_store_2addr_stride64_b32 v1, v84, v85 offset0:31 offset1:33
	v_dual_sub_f32 v49, v97, v75 :: v_dual_sub_f32 v2, v96, v86
	v_sub_f32_e32 v52, v98, v76
	v_sub_f32_e32 v54, v99, v77
	;; [unrolled: 1-line block ×3, first 2 shown]
	s_delay_alu instid0(VALU_DEP_4)
	v_fma_f32 v76, v97, 2.0, -v49
	v_fma_f32 v75, v96, 2.0, -v2
	;; [unrolled: 1-line block ×5, first 2 shown]
	ds_store_2addr_stride64_b32 v1, v79, v2 offset0:48 offset1:50
	ds_store_2addr_stride64_b32 v1, v75, v76 offset0:35 offset1:37
	;; [unrolled: 1-line block ×6, first 2 shown]
	global_wb scope:SCOPE_SE
	s_wait_dscnt 0x0
	s_barrier_signal -1
	s_barrier_wait -1
	global_inv scope:SCOPE_SE
	s_and_saveexec_b32 s0, vcc_lo
	s_cbranch_execz .LBB0_15
; %bb.14:
	v_dual_mov_b32 v58, v3 :: v_dual_mov_b32 v49, v3
	v_mov_b32_e32 v56, v3
	v_dual_mov_b32 v52, v3 :: v_dual_add_nc_u32 v89, 0x100, v0
	s_delay_alu instid0(VALU_DEP_3)
	v_lshlrev_b64_e32 v[1:2], 3, v[57:58]
	v_mov_b32_e32 v54, v3
	v_lshlrev_b64_e32 v[48:49], 3, v[48:49]
	v_lshlrev_b64_e32 v[38:39], 3, v[38:39]
	v_mul_hi_u32 v87, 0x88888889, v0
	v_mul_hi_u32 v96, 0x88888889, v89
	v_add_co_u32 v1, vcc_lo, s8, v1
	s_wait_alu 0xfffd
	v_add_co_ci_u32_e32 v2, vcc_lo, s9, v2, vcc_lo
	v_lshlrev_b64_e32 v[53:54], 3, v[53:54]
	v_mul_i32_i24_e32 v42, 0xffffffdc, v42
	s_clause 0x4
	global_load_b64 v[30:31], v[30:31], off offset:15280
	global_load_b64 v[57:58], v[1:2], off offset:15280
	;; [unrolled: 1-line block ×5, first 2 shown]
	v_lshlrev_b64_e32 v[1:2], 3, v[51:52]
	v_mov_b32_e32 v51, v3
	v_lshlrev_b64_e32 v[55:56], 3, v[55:56]
	v_lshrrev_b32_e32 v87, 10, v87
	v_mul_i32_i24_e32 v44, 0xffffffdc, v44
	v_add_nc_u32_e32 v91, 0x200, v0
	s_delay_alu instid0(VALU_DEP_4)
	v_add_co_u32 v55, vcc_lo, s8, v55
	s_wait_alu 0xfffd
	v_add_co_ci_u32_e32 v56, vcc_lo, s9, v56, vcc_lo
	v_add_co_u32 v52, vcc_lo, s8, v53
	s_wait_alu 0xfffd
	v_add_co_ci_u32_e32 v53, vcc_lo, s9, v54, vcc_lo
	;; [unrolled: 3-line block ×3, first 2 shown]
	v_add_co_u32 v75, vcc_lo, s8, v48
	v_mov_b32_e32 v48, v3
	s_wait_alu 0xfffd
	v_add_co_ci_u32_e32 v76, vcc_lo, s9, v49, vcc_lo
	v_lshlrev_b64_e32 v[49:50], 3, v[50:51]
	s_clause 0x3
	global_load_b64 v[54:55], v[55:56], off offset:15280
	global_load_b64 v[51:52], v[52:53], off offset:15280
	;; [unrolled: 1-line block ×4, first 2 shown]
	v_lshlrev_b64_e32 v[1:2], 3, v[47:48]
	v_mov_b32_e32 v47, v3
	v_mul_lo_u32 v53, s2, v41
	v_mul_hi_u32 v98, 0x88888889, v91
	v_add_co_u32 v48, vcc_lo, s8, v49
	s_delay_alu instid0(VALU_DEP_4)
	v_lshlrev_b64_e32 v[46:47], 3, v[46:47]
	s_wait_alu 0xfffd
	v_add_co_ci_u32_e32 v49, vcc_lo, s9, v50, vcc_lo
	v_add_co_u32 v1, vcc_lo, s8, v1
	s_wait_alu 0xfffd
	v_add_co_ci_u32_e32 v2, vcc_lo, s9, v2, vcc_lo
	v_add_co_u32 v46, vcc_lo, s8, v46
	s_wait_alu 0xfffd
	v_add_co_ci_u32_e32 v47, vcc_lo, s9, v47, vcc_lo
	s_clause 0x5
	global_load_b64 v[48:49], v[48:49], off offset:15280
	global_load_b64 v[79:80], v[1:2], off offset:15280
	;; [unrolled: 1-line block ×6, first 2 shown]
	v_mul_lo_u32 v50, s3, v40
	v_mad_co_u64_u32 v[1:2], null, s2, v40, 0
	ds_load_2addr_stride64_b32 v[40:41], v102 offset0:56 offset1:58
	ds_load_2addr_stride64_b32 v[81:82], v102 offset0:52 offset1:54
	ds_load_b32 v56, v69
	ds_load_b32 v113, v68
	;; [unrolled: 1-line block ×4, first 2 shown]
	ds_load_2addr_stride64_b32 v[66:67], v102 offset0:48 offset1:50
	ds_load_2addr_stride64_b32 v[68:69], v102 offset0:44 offset1:46
	ds_load_2addr_stride64_b32 v[83:84], v102 offset0:40 offset1:42
	ds_load_b32 v116, v37
	ds_load_b32 v117, v36
	;; [unrolled: 1-line block ×8, first 2 shown]
	ds_load_2addr_stride64_b32 v[34:35], v102 offset0:36 offset1:38
	ds_load_2addr_stride64_b32 v[36:37], v102 offset0:32 offset1:34
	ds_load_2addr_stride64_b32 v[85:86], v102 offset1:30
	v_add_nc_u32_e32 v88, 0x80, v0
	v_add_nc_u32_e32 v90, 0x180, v0
	;; [unrolled: 1-line block ×5, first 2 shown]
	v_add3_u32 v2, v2, v53, v50
	v_mul_hi_u32 v97, 0x88888889, v90
	v_mul_u32_u24_e32 v53, 0x780, v87
	v_lshrrev_b32_e32 v102, 10, v98
	v_add_nc_u32_e32 v125, 0x480, v0
	v_lshlrev_b64_e32 v[1:2], 3, v[1:2]
	s_delay_alu instid0(VALU_DEP_4) | instskip(NEXT) | instid1(VALU_DEP_2)
	v_sub_nc_u32_e32 v53, v0, v53
	v_add_co_u32 v1, vcc_lo, s6, v1
	s_wait_alu 0xfffd
	s_delay_alu instid0(VALU_DEP_3) | instskip(NEXT) | instid1(VALU_DEP_3)
	v_add_co_ci_u32_e32 v106, vcc_lo, s7, v2, vcc_lo
	v_lshlrev_b32_e32 v53, 3, v53
	s_delay_alu instid0(VALU_DEP_3) | instskip(SKIP_1) | instid1(VALU_DEP_3)
	v_add_co_u32 v127, vcc_lo, v1, v38
	s_wait_alu 0xfffd
	v_add_co_ci_u32_e32 v128, vcc_lo, v106, v39, vcc_lo
	s_wait_loadcnt_dscnt 0xe02
	v_mul_f32_e32 v1, v30, v34
	v_mul_hi_u32 v95, 0x88888889, v88
	v_add_nc_u32_e32 v94, 0x380, v0
	s_wait_loadcnt_dscnt 0xb01
	v_mul_f32_e32 v129, v6, v36
	v_add_nc_u32_e32 v44, v101, v44
	v_mul_f32_e32 v36, v7, v36
	v_mul_f32_e32 v34, v31, v34
	v_mul_hi_u32 v100, 0x88888889, v93
	v_fmac_f32_e32 v129, v26, v7
	v_lshrrev_b32_e32 v87, 10, v95
	v_lshrrev_b32_e32 v95, 10, v96
	;; [unrolled: 1-line block ×3, first 2 shown]
	ds_load_b32 v44, v44
	ds_load_b32 v42, v42
	v_fmac_f32_e32 v1, v10, v31
	v_mul_u32_u24_e32 v97, 0x780, v87
	v_mul_u32_u24_e32 v98, 0x780, v95
	v_mul_hi_u32 v101, 0x88888889, v94
	s_wait_loadcnt_dscnt 0xa02
	v_mul_f32_e32 v130, v4, v86
	v_lshrrev_b32_e32 v107, 10, v100
	v_sub_nc_u32_e32 v2, v88, v97
	v_sub_nc_u32_e32 v97, v89, v98
	v_mul_u32_u24_e32 v100, 0x780, v102
	v_mul_f32_e32 v86, v5, v86
	v_fmac_f32_e32 v130, v25, v5
	v_mad_u32_u24 v2, 0xf00, v87, v2
	v_add_co_u32 v87, vcc_lo, v127, v53
	v_mul_f32_e32 v53, v8, v37
	v_mul_f32_e32 v37, v9, v37
	v_mul_hi_u32 v99, 0x88888889, v92
	v_lshlrev_b64_e32 v[38:39], 3, v[2:3]
	v_dual_sub_f32 v5, v121, v1 :: v_dual_add_nc_u32 v2, 0x780, v2
	v_lshrrev_b32_e32 v111, 10, v101
	v_dual_fmac_f32 v53, v27, v9 :: v_dual_add_nc_u32 v124, 0x400, v0
	v_mul_u32_u24_e32 v104, 0x780, v107
	v_lshrrev_b32_e32 v103, 10, v99
	v_mul_u32_u24_e32 v99, 0x780, v96
	v_mul_u32_u24_e32 v105, 0x780, v111
	v_fma_f32 v10, v10, v30, -v34
	v_sub_nc_u32_e32 v109, v93, v104
	v_mul_u32_u24_e32 v101, 0x780, v103
	v_sub_nc_u32_e32 v98, v90, v99
	v_lshlrev_b64_e32 v[89:90], 3, v[2:3]
	v_mad_u32_u24 v2, 0xf00, v95, v97
	v_sub_nc_u32_e32 v99, v91, v100
	v_sub_nc_u32_e32 v108, v92, v101
	;; [unrolled: 1-line block ×3, first 2 shown]
	s_wait_dscnt 0x1
	v_sub_f32_e32 v7, v44, v53
	v_lshlrev_b64_e32 v[91:92], 3, v[2:3]
	s_wait_dscnt 0x0
	v_dual_sub_f32 v9, v42, v129 :: v_dual_add_nc_u32 v2, 0x780, v2
	s_wait_loadcnt 0x6
	v_mul_f32_e32 v53, v76, v67
	v_fma_f32 v25, v25, v4, -v86
	v_fma_f32 v8, v27, v8, -v37
	v_lshlrev_b64_e32 v[93:94], 3, v[2:3]
	v_mad_u32_u24 v2, 0xf00, v96, v98
	v_fma_f32 v26, v26, v6, -v36
	s_wait_alu 0xfffd
	v_add_co_ci_u32_e32 v88, vcc_lo, 0, v128, vcc_lo
	v_sub_f32_e32 v25, v24, v25
	v_lshlrev_b64_e32 v[95:96], 3, v[2:3]
	v_add_nc_u32_e32 v2, 0x780, v2
	v_add_co_u32 v38, vcc_lo, v127, v38
	s_wait_alu 0xfffd
	v_add_co_ci_u32_e32 v39, vcc_lo, v128, v39, vcc_lo
	s_delay_alu instid0(VALU_DEP_3)
	v_lshlrev_b64_e32 v[97:98], 3, v[2:3]
	v_mad_u32_u24 v2, 0xf00, v102, v99
	v_sub_f32_e32 v4, v72, v10
	v_sub_f32_e32 v6, v74, v8
	;; [unrolled: 1-line block ×3, first 2 shown]
	v_fma_f32 v37, v44, 2.0, -v7
	v_lshlrev_b64_e32 v[99:100], 3, v[2:3]
	v_dual_mul_f32 v1, v57, v41 :: v_dual_add_nc_u32 v2, 0x780, v2
	v_mul_f32_e32 v10, v58, v41
	v_dual_mul_f32 v41, v77, v81 :: v_dual_mul_f32 v44, v75, v67
	s_delay_alu instid0(VALU_DEP_3)
	v_lshlrev_b64_e32 v[101:102], 3, v[2:3]
	v_mad_u32_u24 v2, 0xf00, v103, v108
	s_wait_loadcnt 0x5
	v_mul_f32_e32 v67, v48, v66
	v_fmac_f32_e32 v41, v18, v78
	v_sub_f32_e32 v26, v85, v130
	v_add_co_u32 v89, vcc_lo, v127, v89
	v_lshlrev_b64_e32 v[103:104], 3, v[2:3]
	v_add_nc_u32_e32 v2, 0x780, v2
	s_wait_alu 0xfffd
	v_add_co_ci_u32_e32 v90, vcc_lo, v128, v90, vcc_lo
	v_add_co_u32 v91, vcc_lo, v127, v91
	s_delay_alu instid0(VALU_DEP_3)
	v_lshlrev_b64_e32 v[105:106], 3, v[2:3]
	v_mad_u32_u24 v2, 0xf00, v107, v109
	v_fma_f32 v31, v121, 2.0, -v5
	s_wait_loadcnt 0x0
	v_dual_mul_f32 v34, v51, v82 :: v_dual_mul_f32 v129, v22, v35
	v_mul_f32_e32 v121, v28, v83
	v_fma_f32 v86, v85, 2.0, -v26
	v_fma_f32 v85, v24, 2.0, -v25
	v_dual_mul_f32 v24, v54, v40 :: v_dual_mul_f32 v35, v23, v35
	s_wait_alu 0xfffd
	v_add_co_ci_u32_e32 v92, vcc_lo, v128, v92, vcc_lo
	v_add_co_u32 v93, vcc_lo, v127, v93
	s_wait_alu 0xfffd
	v_add_co_ci_u32_e32 v94, vcc_lo, v128, v94, vcc_lo
	v_add_co_u32 v95, vcc_lo, v127, v95
	v_lshlrev_b64_e32 v[107:108], 3, v[2:3]
	v_dual_mul_f32 v27, v55, v40 :: v_dual_add_nc_u32 v2, 0x780, v2
	v_fma_f32 v30, v72, 2.0, -v4
	v_dual_mul_f32 v66, v49, v66 :: v_dual_fmac_f32 v67, v16, v49
	v_dual_fmac_f32 v1, v21, v58 :: v_dual_fmac_f32 v34, v19, v52
	v_fmac_f32_e32 v24, v20, v55
	v_mul_f32_e32 v72, v79, v69
	v_mul_f32_e32 v69, v80, v69
	v_fma_f32 v36, v74, 2.0, -v6
	v_fma_f32 v74, v42, 2.0, -v9
	v_mul_f32_e32 v42, v78, v81
	v_dual_mul_f32 v81, v46, v68 :: v_dual_mul_f32 v40, v52, v82
	v_dual_mul_f32 v68, v47, v68 :: v_dual_fmac_f32 v121, v12, v29
	v_dual_mul_f32 v82, v32, v84 :: v_dual_fmac_f32 v129, v11, v23
	v_mul_f32_e32 v84, v33, v84
	v_mul_hi_u32 v50, 0x88888889, v124
	s_wait_alu 0xfffd
	v_add_co_ci_u32_e32 v96, vcc_lo, v128, v96, vcc_lo
	v_fma_f32 v73, v73, 2.0, -v8
	v_add_co_u32 v97, vcc_lo, v127, v97
	s_wait_alu 0xfffd
	v_add_co_ci_u32_e32 v98, vcc_lo, v128, v98, vcc_lo
	v_mul_f32_e32 v83, v29, v83
	s_clause 0x7
	global_store_b64 v[87:88], v[85:86], off
	global_store_b64 v[87:88], v[25:26], off offset:15360
	global_store_b64 v[38:39], v[73:74], off
	global_store_b64 v[89:90], v[8:9], off
	;; [unrolled: 1-line block ×6, first 2 shown]
	v_sub_f32_e32 v5, v56, v1
	v_fma_f32 v4, v21, v57, -v10
	v_fma_f32 v6, v20, v54, -v27
	;; [unrolled: 1-line block ×8, first 2 shown]
	v_add_co_u32 v99, vcc_lo, v127, v99
	s_wait_alu 0xfffd
	v_add_co_ci_u32_e32 v100, vcc_lo, v128, v100, vcc_lo
	v_add_co_u32 v101, vcc_lo, v127, v101
	v_lshrrev_b32_e32 v50, 10, v50
	v_fmac_f32_e32 v81, v14, v47
	v_fma_f32 v26, v12, v28, -v83
	v_dual_sub_f32 v4, v71, v4 :: v_dual_sub_f32 v9, v114, v34
	v_sub_f32_e32 v7, v113, v24
	v_sub_f32_e32 v14, v62, v16
	;; [unrolled: 1-line block ×7, first 2 shown]
	s_wait_alu 0xfffd
	v_add_co_ci_u32_e32 v102, vcc_lo, v128, v102, vcc_lo
	v_add_co_u32 v103, vcc_lo, v127, v103
	v_fma_f32 v8, v19, v51, -v40
	v_dual_fmac_f32 v44, v17, v76 :: v_dual_sub_f32 v11, v115, v41
	v_fmac_f32_e32 v82, v13, v33
	s_wait_alu 0xfffd
	v_add_co_ci_u32_e32 v104, vcc_lo, v128, v104, vcc_lo
	s_delay_alu instid0(VALU_DEP_3)
	v_sub_f32_e32 v13, v122, v44
	v_mul_u32_u24_e32 v126, 0x780, v50
	v_add_co_u32 v105, vcc_lo, v127, v105
	v_lshlrev_b64_e32 v[109:110], 3, v[2:3]
	v_mad_u32_u24 v2, 0xf00, v111, v112
	v_dual_sub_f32 v10, v64, v10 :: v_dual_sub_f32 v23, v123, v121
	v_sub_f32_e32 v22, v43, v26
	v_fma_f32 v47, v120, 2.0, -v25
	v_fma_f32 v46, v60, 2.0, -v24
	s_wait_alu 0xfffd
	v_add_co_ci_u32_e32 v106, vcc_lo, v128, v106, vcc_lo
	v_dual_sub_f32 v8, v65, v8 :: v_dual_sub_f32 v21, v119, v82
	v_mul_hi_u32 v1, 0x88888889, v125
	v_add_co_u32 v107, vcc_lo, v127, v107
	s_wait_alu 0xfffd
	v_add_co_ci_u32_e32 v108, vcc_lo, v128, v108, vcc_lo
	v_lshlrev_b64_e32 v[111:112], 3, v[2:3]
	v_fma_f32 v44, v123, 2.0, -v23
	v_fma_f32 v43, v43, 2.0, -v22
	s_clause 0x1
	global_store_b64 v[99:100], v[46:47], off
	global_store_b64 v[101:102], v[24:25], off
	v_add_nc_u32_e32 v2, 0x780, v2
	v_sub_nc_u32_e32 v24, v124, v126
	v_add_co_u32 v109, vcc_lo, v127, v109
	v_fma_f32 v49, v119, 2.0, -v21
	v_fma_f32 v48, v45, 2.0, -v20
	v_add_nc_u32_e32 v46, 0x500, v0
	s_wait_alu 0xfffd
	v_add_co_ci_u32_e32 v110, vcc_lo, v128, v110, vcc_lo
	s_clause 0x3
	global_store_b64 v[103:104], v[43:44], off
	global_store_b64 v[105:106], v[22:23], off
	;; [unrolled: 1-line block ×4, first 2 shown]
	v_lshlrev_b64_e32 v[20:21], 3, v[2:3]
	v_mad_u32_u24 v2, 0xf00, v50, v24
	v_lshrrev_b32_e32 v1, 10, v1
	v_mul_hi_u32 v44, 0x88888889, v46
	v_fma_f32 v17, v17, v75, -v53
	v_dual_fmac_f32 v72, v15, v80 :: v_dual_sub_f32 v19, v118, v81
	v_lshlrev_b64_e32 v[24:25], 3, v[2:3]
	v_add_nc_u32_e32 v2, 0x780, v2
	v_mul_u32_u24_e32 v45, 0x780, v1
	v_add_co_u32 v22, vcc_lo, v127, v111
	v_lshrrev_b32_e32 v47, 10, v44
	s_delay_alu instid0(VALU_DEP_4) | instskip(NEXT) | instid1(VALU_DEP_4)
	v_lshlrev_b64_e32 v[42:43], 3, v[2:3]
	v_sub_nc_u32_e32 v2, v125, v45
	v_add_nc_u32_e32 v48, 0x580, v0
	s_wait_alu 0xfffd
	v_add_co_ci_u32_e32 v23, vcc_lo, v128, v112, vcc_lo
	v_add_co_u32 v20, vcc_lo, v127, v20
	v_mad_u32_u24 v2, 0xf00, v1, v2
	v_mul_u32_u24_e32 v1, 0x780, v47
	v_sub_f32_e32 v6, v70, v6
	v_dual_sub_f32 v12, v63, v17 :: v_dual_sub_f32 v17, v117, v72
	s_wait_alu 0xfffd
	v_add_co_ci_u32_e32 v21, vcc_lo, v128, v21, vcc_lo
	v_mul_hi_u32 v49, 0x88888889, v48
	v_add_co_u32 v24, vcc_lo, v127, v24
	v_fma_f32 v41, v118, 2.0, -v19
	v_fma_f32 v40, v59, 2.0, -v18
	s_wait_alu 0xfffd
	v_add_co_ci_u32_e32 v25, vcc_lo, v128, v25, vcc_lo
	v_lshlrev_b64_e32 v[44:45], 3, v[2:3]
	v_add_nc_u32_e32 v2, 0x780, v2
	v_sub_nc_u32_e32 v1, v46, v1
	v_add_co_u32 v42, vcc_lo, v127, v42
	v_fma_f32 v39, v117, 2.0, -v17
	v_fma_f32 v38, v61, 2.0, -v16
	s_wait_alu 0xfffd
	v_add_co_ci_u32_e32 v43, vcc_lo, v128, v43, vcc_lo
	s_clause 0x3
	global_store_b64 v[22:23], v[40:41], off
	global_store_b64 v[20:21], v[18:19], off
	;; [unrolled: 1-line block ×4, first 2 shown]
	v_lshlrev_b64_e32 v[16:17], 3, v[2:3]
	v_mad_u32_u24 v2, 0xf00, v47, v1
	v_lshrrev_b32_e32 v1, 10, v49
	v_add_nc_u32_e32 v38, 0x600, v0
	v_add_co_u32 v18, vcc_lo, v127, v44
	s_delay_alu instid0(VALU_DEP_4)
	v_lshlrev_b64_e32 v[20:21], 3, v[2:3]
	v_add_nc_u32_e32 v2, 0x780, v2
	v_mul_u32_u24_e32 v24, 0x780, v1
	v_mul_hi_u32 v25, 0x88888889, v38
	s_wait_alu 0xfffd
	v_add_co_ci_u32_e32 v19, vcc_lo, v128, v45, vcc_lo
	v_lshlrev_b64_e32 v[22:23], 3, v[2:3]
	v_sub_nc_u32_e32 v2, v48, v24
	v_sub_f32_e32 v15, v116, v67
	v_add_co_u32 v16, vcc_lo, v127, v16
	v_add_nc_u32_e32 v40, 0x680, v0
	s_wait_alu 0xfffd
	v_add_co_ci_u32_e32 v17, vcc_lo, v128, v17, vcc_lo
	v_add_co_u32 v20, vcc_lo, v127, v20
	v_mad_u32_u24 v2, 0xf00, v1, v2
	v_lshrrev_b32_e32 v39, 10, v25
	v_fma_f32 v37, v116, 2.0, -v15
	v_fma_f32 v36, v62, 2.0, -v14
	s_wait_alu 0xfffd
	v_add_co_ci_u32_e32 v21, vcc_lo, v128, v21, vcc_lo
	v_mul_hi_u32 v1, 0x88888889, v40
	v_add_co_u32 v22, vcc_lo, v127, v22
	v_fma_f32 v35, v122, 2.0, -v13
	v_fma_f32 v34, v63, 2.0, -v12
	s_wait_alu 0xfffd
	v_add_co_ci_u32_e32 v23, vcc_lo, v128, v23, vcc_lo
	v_lshlrev_b64_e32 v[24:25], 3, v[2:3]
	v_add_nc_u32_e32 v2, 0x780, v2
	v_mul_u32_u24_e32 v41, 0x780, v39
	s_clause 0x3
	global_store_b64 v[18:19], v[36:37], off
	global_store_b64 v[16:17], v[14:15], off
	;; [unrolled: 1-line block ×4, first 2 shown]
	v_add_nc_u32_e32 v17, 0x700, v0
	v_lshrrev_b32_e32 v16, 10, v1
	v_lshlrev_b64_e32 v[12:13], 3, v[2:3]
	v_sub_nc_u32_e32 v2, v38, v41
	v_add_co_u32 v0, vcc_lo, v127, v24
	v_mul_hi_u32 v19, 0x88888889, v17
	v_mul_u32_u24_e32 v18, 0x780, v16
	s_delay_alu instid0(VALU_DEP_4)
	v_mad_u32_u24 v2, 0xf00, v39, v2
	s_wait_alu 0xfffd
	v_add_co_ci_u32_e32 v1, vcc_lo, v128, v25, vcc_lo
	v_add_co_u32 v12, vcc_lo, v127, v12
	v_fma_f32 v33, v115, 2.0, -v11
	v_fma_f32 v32, v64, 2.0, -v10
	v_lshlrev_b64_e32 v[14:15], 3, v[2:3]
	v_add_nc_u32_e32 v2, 0x780, v2
	v_sub_nc_u32_e32 v18, v40, v18
	v_lshrrev_b32_e32 v19, 10, v19
	s_wait_alu 0xfffd
	v_add_co_ci_u32_e32 v13, vcc_lo, v128, v13, vcc_lo
	s_clause 0x1
	global_store_b64 v[0:1], v[32:33], off
	global_store_b64 v[12:13], v[10:11], off
	v_lshlrev_b64_e32 v[0:1], 3, v[2:3]
	v_mad_u32_u24 v2, 0xf00, v16, v18
	v_mul_u32_u24_e32 v16, 0x780, v19
	v_add_co_u32 v10, vcc_lo, v127, v14
	s_wait_alu 0xfffd
	v_add_co_ci_u32_e32 v11, vcc_lo, v128, v15, vcc_lo
	v_lshlrev_b64_e32 v[12:13], 3, v[2:3]
	v_add_nc_u32_e32 v2, 0x780, v2
	v_sub_nc_u32_e32 v16, v17, v16
	v_add_co_u32 v0, vcc_lo, v127, v0
	s_wait_alu 0xfffd
	v_add_co_ci_u32_e32 v1, vcc_lo, v128, v1, vcc_lo
	v_lshlrev_b64_e32 v[14:15], 3, v[2:3]
	v_mad_u32_u24 v2, 0xf00, v19, v16
	v_add_co_u32 v12, vcc_lo, v127, v12
	s_wait_alu 0xfffd
	v_add_co_ci_u32_e32 v13, vcc_lo, v128, v13, vcc_lo
	s_delay_alu instid0(VALU_DEP_3) | instskip(SKIP_4) | instid1(VALU_DEP_3)
	v_lshlrev_b64_e32 v[16:17], 3, v[2:3]
	v_add_nc_u32_e32 v2, 0x780, v2
	v_add_co_u32 v14, vcc_lo, v127, v14
	s_wait_alu 0xfffd
	v_add_co_ci_u32_e32 v15, vcc_lo, v128, v15, vcc_lo
	v_lshlrev_b64_e32 v[2:3], 3, v[2:3]
	v_fma_f32 v31, v114, 2.0, -v9
	v_fma_f32 v30, v65, 2.0, -v8
	v_add_co_u32 v16, vcc_lo, v127, v16
	v_fma_f32 v29, v113, 2.0, -v7
	v_fma_f32 v28, v70, 2.0, -v6
	s_wait_alu 0xfffd
	v_add_co_ci_u32_e32 v17, vcc_lo, v128, v17, vcc_lo
	v_add_co_u32 v2, vcc_lo, v127, v2
	v_fma_f32 v27, v56, 2.0, -v5
	v_fma_f32 v26, v71, 2.0, -v4
	s_wait_alu 0xfffd
	v_add_co_ci_u32_e32 v3, vcc_lo, v128, v3, vcc_lo
	s_clause 0x5
	global_store_b64 v[10:11], v[30:31], off
	global_store_b64 v[0:1], v[8:9], off
	;; [unrolled: 1-line block ×6, first 2 shown]
.LBB0_15:
	s_nop 0
	s_sendmsg sendmsg(MSG_DEALLOC_VGPRS)
	s_endpgm
	.section	.rodata,"a",@progbits
	.p2align	6, 0x0
	.amdhsa_kernel fft_rtc_fwd_len3840_factors_10_6_2_2_2_2_2_2_wgs_128_tpt_128_halfLds_sp_op_CI_CI_unitstride_sbrr_dirReg
		.amdhsa_group_segment_fixed_size 0
		.amdhsa_private_segment_fixed_size 0
		.amdhsa_kernarg_size 104
		.amdhsa_user_sgpr_count 2
		.amdhsa_user_sgpr_dispatch_ptr 0
		.amdhsa_user_sgpr_queue_ptr 0
		.amdhsa_user_sgpr_kernarg_segment_ptr 1
		.amdhsa_user_sgpr_dispatch_id 0
		.amdhsa_user_sgpr_private_segment_size 0
		.amdhsa_wavefront_size32 1
		.amdhsa_uses_dynamic_stack 0
		.amdhsa_enable_private_segment 0
		.amdhsa_system_sgpr_workgroup_id_x 1
		.amdhsa_system_sgpr_workgroup_id_y 0
		.amdhsa_system_sgpr_workgroup_id_z 0
		.amdhsa_system_sgpr_workgroup_info 0
		.amdhsa_system_vgpr_workitem_id 0
		.amdhsa_next_free_vgpr 157
		.amdhsa_next_free_sgpr 39
		.amdhsa_reserve_vcc 1
		.amdhsa_float_round_mode_32 0
		.amdhsa_float_round_mode_16_64 0
		.amdhsa_float_denorm_mode_32 3
		.amdhsa_float_denorm_mode_16_64 3
		.amdhsa_fp16_overflow 0
		.amdhsa_workgroup_processor_mode 1
		.amdhsa_memory_ordered 1
		.amdhsa_forward_progress 0
		.amdhsa_round_robin_scheduling 0
		.amdhsa_exception_fp_ieee_invalid_op 0
		.amdhsa_exception_fp_denorm_src 0
		.amdhsa_exception_fp_ieee_div_zero 0
		.amdhsa_exception_fp_ieee_overflow 0
		.amdhsa_exception_fp_ieee_underflow 0
		.amdhsa_exception_fp_ieee_inexact 0
		.amdhsa_exception_int_div_zero 0
	.end_amdhsa_kernel
	.text
.Lfunc_end0:
	.size	fft_rtc_fwd_len3840_factors_10_6_2_2_2_2_2_2_wgs_128_tpt_128_halfLds_sp_op_CI_CI_unitstride_sbrr_dirReg, .Lfunc_end0-fft_rtc_fwd_len3840_factors_10_6_2_2_2_2_2_2_wgs_128_tpt_128_halfLds_sp_op_CI_CI_unitstride_sbrr_dirReg
                                        ; -- End function
	.section	.AMDGPU.csdata,"",@progbits
; Kernel info:
; codeLenInByte = 23880
; NumSgprs: 41
; NumVgprs: 157
; ScratchSize: 0
; MemoryBound: 0
; FloatMode: 240
; IeeeMode: 1
; LDSByteSize: 0 bytes/workgroup (compile time only)
; SGPRBlocks: 5
; VGPRBlocks: 19
; NumSGPRsForWavesPerEU: 41
; NumVGPRsForWavesPerEU: 157
; Occupancy: 9
; WaveLimiterHint : 1
; COMPUTE_PGM_RSRC2:SCRATCH_EN: 0
; COMPUTE_PGM_RSRC2:USER_SGPR: 2
; COMPUTE_PGM_RSRC2:TRAP_HANDLER: 0
; COMPUTE_PGM_RSRC2:TGID_X_EN: 1
; COMPUTE_PGM_RSRC2:TGID_Y_EN: 0
; COMPUTE_PGM_RSRC2:TGID_Z_EN: 0
; COMPUTE_PGM_RSRC2:TIDIG_COMP_CNT: 0
	.text
	.p2alignl 7, 3214868480
	.fill 96, 4, 3214868480
	.type	__hip_cuid_11c182ce170a07f,@object ; @__hip_cuid_11c182ce170a07f
	.section	.bss,"aw",@nobits
	.globl	__hip_cuid_11c182ce170a07f
__hip_cuid_11c182ce170a07f:
	.byte	0                               ; 0x0
	.size	__hip_cuid_11c182ce170a07f, 1

	.ident	"AMD clang version 19.0.0git (https://github.com/RadeonOpenCompute/llvm-project roc-6.4.0 25133 c7fe45cf4b819c5991fe208aaa96edf142730f1d)"
	.section	".note.GNU-stack","",@progbits
	.addrsig
	.addrsig_sym __hip_cuid_11c182ce170a07f
	.amdgpu_metadata
---
amdhsa.kernels:
  - .args:
      - .actual_access:  read_only
        .address_space:  global
        .offset:         0
        .size:           8
        .value_kind:     global_buffer
      - .offset:         8
        .size:           8
        .value_kind:     by_value
      - .actual_access:  read_only
        .address_space:  global
        .offset:         16
        .size:           8
        .value_kind:     global_buffer
      - .actual_access:  read_only
        .address_space:  global
        .offset:         24
        .size:           8
        .value_kind:     global_buffer
      - .actual_access:  read_only
        .address_space:  global
        .offset:         32
        .size:           8
        .value_kind:     global_buffer
      - .offset:         40
        .size:           8
        .value_kind:     by_value
      - .actual_access:  read_only
        .address_space:  global
        .offset:         48
        .size:           8
        .value_kind:     global_buffer
      - .actual_access:  read_only
        .address_space:  global
        .offset:         56
        .size:           8
        .value_kind:     global_buffer
      - .offset:         64
        .size:           4
        .value_kind:     by_value
      - .actual_access:  read_only
        .address_space:  global
        .offset:         72
        .size:           8
        .value_kind:     global_buffer
      - .actual_access:  read_only
        .address_space:  global
        .offset:         80
        .size:           8
        .value_kind:     global_buffer
      - .actual_access:  read_only
        .address_space:  global
        .offset:         88
        .size:           8
        .value_kind:     global_buffer
      - .actual_access:  write_only
        .address_space:  global
        .offset:         96
        .size:           8
        .value_kind:     global_buffer
    .group_segment_fixed_size: 0
    .kernarg_segment_align: 8
    .kernarg_segment_size: 104
    .language:       OpenCL C
    .language_version:
      - 2
      - 0
    .max_flat_workgroup_size: 128
    .name:           fft_rtc_fwd_len3840_factors_10_6_2_2_2_2_2_2_wgs_128_tpt_128_halfLds_sp_op_CI_CI_unitstride_sbrr_dirReg
    .private_segment_fixed_size: 0
    .sgpr_count:     41
    .sgpr_spill_count: 0
    .symbol:         fft_rtc_fwd_len3840_factors_10_6_2_2_2_2_2_2_wgs_128_tpt_128_halfLds_sp_op_CI_CI_unitstride_sbrr_dirReg.kd
    .uniform_work_group_size: 1
    .uses_dynamic_stack: false
    .vgpr_count:     157
    .vgpr_spill_count: 0
    .wavefront_size: 32
    .workgroup_processor_mode: 1
amdhsa.target:   amdgcn-amd-amdhsa--gfx1201
amdhsa.version:
  - 1
  - 2
...

	.end_amdgpu_metadata
